;; amdgpu-corpus repo=ROCm/rocFFT kind=compiled arch=gfx950 opt=O3
	.text
	.amdgcn_target "amdgcn-amd-amdhsa--gfx950"
	.amdhsa_code_object_version 6
	.protected	fft_rtc_back_len1904_factors_17_2_2_7_4_wgs_119_tpt_119_halfLds_sp_op_CI_CI_unitstride_sbrr_R2C_dirReg ; -- Begin function fft_rtc_back_len1904_factors_17_2_2_7_4_wgs_119_tpt_119_halfLds_sp_op_CI_CI_unitstride_sbrr_R2C_dirReg
	.globl	fft_rtc_back_len1904_factors_17_2_2_7_4_wgs_119_tpt_119_halfLds_sp_op_CI_CI_unitstride_sbrr_R2C_dirReg
	.p2align	8
	.type	fft_rtc_back_len1904_factors_17_2_2_7_4_wgs_119_tpt_119_halfLds_sp_op_CI_CI_unitstride_sbrr_R2C_dirReg,@function
fft_rtc_back_len1904_factors_17_2_2_7_4_wgs_119_tpt_119_halfLds_sp_op_CI_CI_unitstride_sbrr_R2C_dirReg: ; @fft_rtc_back_len1904_factors_17_2_2_7_4_wgs_119_tpt_119_halfLds_sp_op_CI_CI_unitstride_sbrr_R2C_dirReg
; %bb.0:
	s_load_dwordx4 s[4:7], s[0:1], 0x58
	s_load_dwordx4 s[8:11], s[0:1], 0x0
	;; [unrolled: 1-line block ×3, first 2 shown]
	v_mul_u32_u24_e32 v1, 0x227, v0
	v_add_u32_sdwa v6, s2, v1 dst_sel:DWORD dst_unused:UNUSED_PAD src0_sel:DWORD src1_sel:WORD_1
	v_mov_b32_e32 v4, 0
	s_waitcnt lgkmcnt(0)
	v_cmp_lt_u64_e64 s[2:3], s[10:11], 2
	v_mov_b32_e32 v7, v4
	s_and_b64 vcc, exec, s[2:3]
	v_mov_b64_e32 v[2:3], 0
	s_cbranch_vccnz .LBB0_8
; %bb.1:
	s_load_dwordx2 s[2:3], s[0:1], 0x10
	s_add_u32 s16, s14, 8
	s_addc_u32 s17, s15, 0
	s_add_u32 s18, s12, 8
	s_addc_u32 s19, s13, 0
	s_waitcnt lgkmcnt(0)
	s_add_u32 s20, s2, 8
	v_mov_b64_e32 v[2:3], 0
	s_addc_u32 s21, s3, 0
	s_mov_b64 s[22:23], 1
	v_mov_b64_e32 v[32:33], v[2:3]
.LBB0_2:                                ; =>This Inner Loop Header: Depth=1
	s_load_dwordx2 s[24:25], s[20:21], 0x0
                                        ; implicit-def: $vgpr36_vgpr37
	s_waitcnt lgkmcnt(0)
	v_or_b32_e32 v5, s25, v7
	v_cmp_ne_u64_e32 vcc, 0, v[4:5]
	s_and_saveexec_b64 s[2:3], vcc
	s_xor_b64 s[26:27], exec, s[2:3]
	s_cbranch_execz .LBB0_4
; %bb.3:                                ;   in Loop: Header=BB0_2 Depth=1
	v_cvt_f32_u32_e32 v1, s24
	v_cvt_f32_u32_e32 v5, s25
	s_sub_u32 s2, 0, s24
	s_subb_u32 s3, 0, s25
	v_fmac_f32_e32 v1, 0x4f800000, v5
	v_rcp_f32_e32 v1, v1
	s_nop 0
	v_mul_f32_e32 v1, 0x5f7ffffc, v1
	v_mul_f32_e32 v5, 0x2f800000, v1
	v_trunc_f32_e32 v5, v5
	v_fmac_f32_e32 v1, 0xcf800000, v5
	v_cvt_u32_f32_e32 v5, v5
	v_cvt_u32_f32_e32 v1, v1
	v_mul_lo_u32 v8, s2, v5
	v_mul_hi_u32 v10, s2, v1
	v_mul_lo_u32 v9, s3, v1
	v_add_u32_e32 v10, v10, v8
	v_mul_lo_u32 v12, s2, v1
	v_add_u32_e32 v13, v10, v9
	v_mul_hi_u32 v8, v1, v12
	v_mul_hi_u32 v11, v1, v13
	v_mul_lo_u32 v10, v1, v13
	v_mov_b32_e32 v9, v4
	v_lshl_add_u64 v[8:9], v[8:9], 0, v[10:11]
	v_mul_hi_u32 v11, v5, v12
	v_mul_lo_u32 v12, v5, v12
	v_add_co_u32_e32 v8, vcc, v8, v12
	v_mul_hi_u32 v10, v5, v13
	s_nop 0
	v_addc_co_u32_e32 v8, vcc, v9, v11, vcc
	v_mov_b32_e32 v9, v4
	s_nop 0
	v_addc_co_u32_e32 v11, vcc, 0, v10, vcc
	v_mul_lo_u32 v10, v5, v13
	v_lshl_add_u64 v[8:9], v[8:9], 0, v[10:11]
	v_add_co_u32_e32 v1, vcc, v1, v8
	v_mul_lo_u32 v10, s2, v1
	s_nop 0
	v_addc_co_u32_e32 v5, vcc, v5, v9, vcc
	v_mul_lo_u32 v8, s2, v5
	v_mul_hi_u32 v9, s2, v1
	v_add_u32_e32 v8, v9, v8
	v_mul_lo_u32 v9, s3, v1
	v_add_u32_e32 v12, v8, v9
	v_mul_hi_u32 v14, v5, v10
	v_mul_lo_u32 v15, v5, v10
	v_mul_hi_u32 v9, v1, v12
	v_mul_lo_u32 v8, v1, v12
	v_mul_hi_u32 v10, v1, v10
	v_mov_b32_e32 v11, v4
	v_lshl_add_u64 v[8:9], v[10:11], 0, v[8:9]
	v_add_co_u32_e32 v8, vcc, v8, v15
	v_mul_hi_u32 v13, v5, v12
	s_nop 0
	v_addc_co_u32_e32 v8, vcc, v9, v14, vcc
	v_mul_lo_u32 v10, v5, v12
	s_nop 0
	v_addc_co_u32_e32 v11, vcc, 0, v13, vcc
	v_mov_b32_e32 v9, v4
	v_lshl_add_u64 v[8:9], v[8:9], 0, v[10:11]
	v_add_co_u32_e32 v1, vcc, v1, v8
	v_mul_hi_u32 v10, v6, v1
	s_nop 0
	v_addc_co_u32_e32 v5, vcc, v5, v9, vcc
	v_mad_u64_u32 v[8:9], s[2:3], v6, v5, 0
	v_mov_b32_e32 v11, v4
	v_lshl_add_u64 v[8:9], v[10:11], 0, v[8:9]
	v_mad_u64_u32 v[12:13], s[2:3], v7, v1, 0
	v_add_co_u32_e32 v1, vcc, v8, v12
	v_mad_u64_u32 v[10:11], s[2:3], v7, v5, 0
	s_nop 0
	v_addc_co_u32_e32 v8, vcc, v9, v13, vcc
	v_mov_b32_e32 v9, v4
	s_nop 0
	v_addc_co_u32_e32 v11, vcc, 0, v11, vcc
	v_lshl_add_u64 v[8:9], v[8:9], 0, v[10:11]
	v_mul_lo_u32 v1, s25, v8
	v_mul_lo_u32 v5, s24, v9
	v_mad_u64_u32 v[10:11], s[2:3], s24, v8, 0
	v_add3_u32 v1, v11, v5, v1
	v_sub_u32_e32 v5, v7, v1
	v_mov_b32_e32 v11, s25
	v_sub_co_u32_e32 v14, vcc, v6, v10
	v_lshl_add_u64 v[12:13], v[8:9], 0, 1
	s_nop 0
	v_subb_co_u32_e64 v5, s[2:3], v5, v11, vcc
	v_subrev_co_u32_e64 v10, s[2:3], s24, v14
	v_subb_co_u32_e32 v1, vcc, v7, v1, vcc
	s_nop 0
	v_subbrev_co_u32_e64 v5, s[2:3], 0, v5, s[2:3]
	v_cmp_le_u32_e64 s[2:3], s25, v5
	v_cmp_le_u32_e32 vcc, s25, v1
	s_nop 0
	v_cndmask_b32_e64 v11, 0, -1, s[2:3]
	v_cmp_le_u32_e64 s[2:3], s24, v10
	s_nop 1
	v_cndmask_b32_e64 v10, 0, -1, s[2:3]
	v_cmp_eq_u32_e64 s[2:3], s25, v5
	s_nop 1
	v_cndmask_b32_e64 v5, v11, v10, s[2:3]
	v_lshl_add_u64 v[10:11], v[8:9], 0, 2
	v_cmp_ne_u32_e64 s[2:3], 0, v5
	s_nop 1
	v_cndmask_b32_e64 v5, v13, v11, s[2:3]
	v_cndmask_b32_e64 v11, 0, -1, vcc
	v_cmp_le_u32_e32 vcc, s24, v14
	s_nop 1
	v_cndmask_b32_e64 v13, 0, -1, vcc
	v_cmp_eq_u32_e32 vcc, s25, v1
	s_nop 1
	v_cndmask_b32_e32 v1, v11, v13, vcc
	v_cmp_ne_u32_e32 vcc, 0, v1
	v_cndmask_b32_e64 v1, v12, v10, s[2:3]
	s_nop 0
	v_cndmask_b32_e32 v37, v9, v5, vcc
	v_cndmask_b32_e32 v36, v8, v1, vcc
.LBB0_4:                                ;   in Loop: Header=BB0_2 Depth=1
	s_andn2_saveexec_b64 s[2:3], s[26:27]
	s_cbranch_execz .LBB0_6
; %bb.5:                                ;   in Loop: Header=BB0_2 Depth=1
	v_cvt_f32_u32_e32 v1, s24
	s_sub_i32 s26, 0, s24
	v_mov_b32_e32 v37, v4
	v_rcp_iflag_f32_e32 v1, v1
	s_nop 0
	v_mul_f32_e32 v1, 0x4f7ffffe, v1
	v_cvt_u32_f32_e32 v1, v1
	v_mul_lo_u32 v5, s26, v1
	v_mul_hi_u32 v5, v1, v5
	v_add_u32_e32 v1, v1, v5
	v_mul_hi_u32 v1, v6, v1
	v_mul_lo_u32 v5, v1, s24
	v_sub_u32_e32 v5, v6, v5
	v_add_u32_e32 v8, 1, v1
	v_subrev_u32_e32 v9, s24, v5
	v_cmp_le_u32_e32 vcc, s24, v5
	s_nop 1
	v_cndmask_b32_e32 v5, v5, v9, vcc
	v_cndmask_b32_e32 v1, v1, v8, vcc
	v_add_u32_e32 v8, 1, v1
	v_cmp_le_u32_e32 vcc, s24, v5
	s_nop 1
	v_cndmask_b32_e32 v36, v1, v8, vcc
.LBB0_6:                                ;   in Loop: Header=BB0_2 Depth=1
	s_or_b64 exec, exec, s[2:3]
	v_mad_u64_u32 v[8:9], s[2:3], v36, s24, 0
	s_load_dwordx2 s[2:3], s[18:19], 0x0
	v_mul_lo_u32 v1, v37, s24
	v_mul_lo_u32 v5, v36, s25
	s_load_dwordx2 s[24:25], s[16:17], 0x0
	s_add_u32 s22, s22, 1
	v_add3_u32 v1, v9, v5, v1
	v_sub_co_u32_e32 v5, vcc, v6, v8
	s_addc_u32 s23, s23, 0
	s_nop 0
	v_subb_co_u32_e32 v1, vcc, v7, v1, vcc
	s_add_u32 s16, s16, 8
	s_waitcnt lgkmcnt(0)
	v_mul_lo_u32 v6, s2, v1
	v_mul_lo_u32 v7, s3, v5
	v_mad_u64_u32 v[2:3], s[2:3], s2, v5, v[2:3]
	s_addc_u32 s17, s17, 0
	v_add3_u32 v3, v7, v3, v6
	v_mul_lo_u32 v1, s24, v1
	v_mul_lo_u32 v6, s25, v5
	v_mad_u64_u32 v[32:33], s[2:3], s24, v5, v[32:33]
	s_add_u32 s18, s18, 8
	v_add3_u32 v33, v6, v33, v1
	s_addc_u32 s19, s19, 0
	v_mov_b64_e32 v[6:7], s[10:11]
	s_add_u32 s20, s20, 8
	v_cmp_ge_u64_e32 vcc, s[22:23], v[6:7]
	s_addc_u32 s21, s21, 0
	s_cbranch_vccnz .LBB0_9
; %bb.7:                                ;   in Loop: Header=BB0_2 Depth=1
	v_mov_b64_e32 v[6:7], v[36:37]
	s_branch .LBB0_2
.LBB0_8:
	v_mov_b64_e32 v[32:33], v[2:3]
	v_mov_b64_e32 v[36:37], v[6:7]
.LBB0_9:
	s_load_dwordx2 s[18:19], s[0:1], 0x28
	s_lshl_b64 s[16:17], s[10:11], 3
	s_add_u32 s2, s14, s16
	s_addc_u32 s3, s15, s17
                                        ; implicit-def: $vgpr34
	s_waitcnt lgkmcnt(0)
	v_cmp_gt_u64_e64 s[0:1], s[18:19], v[36:37]
	v_cmp_le_u64_e32 vcc, s[18:19], v[36:37]
	s_and_saveexec_b64 s[10:11], vcc
	s_xor_b64 s[10:11], exec, s[10:11]
; %bb.10:
	s_mov_b32 s14, 0x226b903
	v_mul_hi_u32 v1, v0, s14
	v_mul_u32_u24_e32 v1, 0x77, v1
	v_sub_u32_e32 v34, v0, v1
                                        ; implicit-def: $vgpr0
                                        ; implicit-def: $vgpr2_vgpr3
; %bb.11:
	s_andn2_saveexec_b64 s[10:11], s[10:11]
	s_cbranch_execz .LBB0_13
; %bb.12:
	s_add_u32 s12, s12, s16
	s_addc_u32 s13, s13, s17
	s_load_dwordx2 s[12:13], s[12:13], 0x0
	s_mov_b32 s14, 0x226b903
	s_waitcnt lgkmcnt(0)
	v_mul_lo_u32 v1, s13, v36
	v_mul_lo_u32 v6, s12, v37
	v_mad_u64_u32 v[4:5], s[12:13], s12, v36, 0
	v_add3_u32 v5, v5, v6, v1
	v_mul_hi_u32 v1, v0, s14
	v_mul_u32_u24_e32 v1, 0x77, v1
	v_sub_u32_e32 v34, v0, v1
	v_lshl_add_u64 v[0:1], v[4:5], 3, s[4:5]
	v_lshl_add_u64 v[0:1], v[2:3], 3, v[0:1]
	v_lshlrev_b32_e32 v2, 3, v34
	v_mov_b32_e32 v3, 0
	v_lshl_add_u64 v[0:1], v[0:1], 0, v[2:3]
	s_movk_i32 s4, 0x1000
	v_add_co_u32_e32 v12, vcc, s4, v0
	s_movk_i32 s4, 0x2000
	s_nop 0
	v_addc_co_u32_e32 v13, vcc, 0, v1, vcc
	v_add_co_u32_e32 v22, vcc, s4, v0
	global_load_dwordx2 v[4:5], v[0:1], off
	global_load_dwordx2 v[6:7], v[0:1], off offset:952
	global_load_dwordx2 v[8:9], v[0:1], off offset:1904
	;; [unrolled: 1-line block ×3, first 2 shown]
	v_addc_co_u32_e32 v23, vcc, 0, v1, vcc
	global_load_dwordx2 v[14:15], v[0:1], off offset:3808
	global_load_dwordx2 v[16:17], v[12:13], off offset:664
	;; [unrolled: 1-line block ×4, first 2 shown]
	v_add_co_u32_e32 v0, vcc, 0x3000, v0
	global_load_dwordx2 v[24:25], v[12:13], off offset:3520
	global_load_dwordx2 v[26:27], v[22:23], off offset:376
	;; [unrolled: 1-line block ×4, first 2 shown]
	v_addc_co_u32_e32 v1, vcc, 0, v1, vcc
	global_load_dwordx2 v[12:13], v[22:23], off offset:3232
	global_load_dwordx2 v[38:39], v[0:1], off offset:88
	;; [unrolled: 1-line block ×4, first 2 shown]
	v_add_u32_e32 v0, 0, v2
	v_add_u32_e32 v1, 0x400, v0
	;; [unrolled: 1-line block ×8, first 2 shown]
	s_waitcnt vmcnt(14)
	ds_write2_b64 v0, v[4:5], v[6:7] offset1:119
	s_waitcnt vmcnt(12)
	ds_write2_b64 v1, v[8:9], v[10:11] offset0:110 offset1:229
	s_waitcnt vmcnt(10)
	ds_write2_b64 v2, v[14:15], v[16:17] offset0:92 offset1:211
	;; [unrolled: 2-line block ×7, first 2 shown]
.LBB0_13:
	s_or_b64 exec, exec, s[10:11]
	v_lshl_add_u32 v170, v34, 3, 0
	v_add_u32_e32 v35, 0x3000, v170
	s_waitcnt lgkmcnt(0)
	s_barrier
	ds_read2_b64 v[0:3], v170 offset1:112
	ds_read2_b64 v[4:7], v35 offset0:32 offset1:144
	ds_read_b64 v[68:69], v170 offset:14336
	v_add_u32_e32 v8, 0x400, v170
	v_add_u32_e32 v171, 0x2800, v170
	ds_read2_b64 v[12:15], v8 offset0:96 offset1:208
	ds_read2_b64 v[8:11], v171 offset0:64 offset1:176
	s_mov_b32 s10, 0x3f6eb680
	s_waitcnt lgkmcnt(2)
	v_pk_add_f32 v[46:47], v[68:69], v[2:3]
	v_pk_add_f32 v[50:51], v[2:3], v[68:69] neg_lo:[0,1] neg_hi:[0,1]
	s_mov_b32 s11, 0xbeb8f4ab
	s_mov_b32 s12, 0x3f3d2fb0
	s_waitcnt lgkmcnt(1)
	v_pk_add_f32 v[44:45], v[6:7], v[12:13]
	v_pk_add_f32 v[48:49], v[12:13], v[6:7] neg_lo:[0,1] neg_hi:[0,1]
	v_mov_b32_e32 v16, v51
	v_mov_b32_e32 v17, v47
	s_mov_b32 s4, s11
	s_mov_b32 s5, s10
	;; [unrolled: 1-line block ×3, first 2 shown]
	v_pk_mul_f32 v[74:75], v[16:17], s[4:5]
	v_mov_b32_e32 v90, v46
	v_mov_b32_e32 v91, v50
	;; [unrolled: 1-line block ×4, first 2 shown]
	s_mov_b32 s4, s13
	s_mov_b32 s5, s12
	v_pk_fma_f32 v[76:77], v[90:91], s[10:11], v[74:75]
	v_pk_fma_f32 v[16:17], v[90:91], s[10:11], v[74:75] neg_lo:[0,0,1] neg_hi:[0,0,1]
	v_pk_mul_f32 v[78:79], v[18:19], s[4:5]
	v_mov_b32_e32 v96, v44
	v_mov_b32_e32 v97, v48
	;; [unrolled: 1-line block ×3, first 2 shown]
	v_pk_fma_f32 v[80:81], v[96:97], s[12:13], v[78:79]
	v_pk_fma_f32 v[18:19], v[96:97], s[12:13], v[78:79] neg_lo:[0,0,1] neg_hi:[0,0,1]
	s_mov_b32 s14, 0x3ee437d1
	v_pk_add_f32 v[40:41], v[4:5], v[14:15]
	v_pk_add_f32 v[42:43], v[14:15], v[4:5] neg_lo:[0,1] neg_hi:[0,1]
	v_pk_add_f32 v[16:17], v[0:1], v[16:17]
	v_mov_b32_e32 v19, v81
	s_mov_b32 s15, 0xbf65296c
	v_add_u32_e32 v22, 0xc00, v170
	v_pk_add_f32 v[20:21], v[18:19], v[16:17]
	v_mov_b32_e32 v16, v43
	v_mov_b32_e32 v17, v41
	s_mov_b32 s4, s15
	s_mov_b32 s5, s14
	v_pk_mul_f32 v[82:83], v[16:17], s[4:5]
	ds_read2_b64 v[16:19], v22 offset0:64 offset1:176
	v_mov_b32_e32 v102, v40
	v_mov_b32_e32 v103, v42
	v_pk_fma_f32 v[84:85], v[102:103], s[14:15], v[82:83]
	v_pk_fma_f32 v[22:23], v[102:103], s[14:15], v[82:83] neg_lo:[0,0,1] neg_hi:[0,0,1]
	s_mov_b32 s16, 0x3dbcf732
	v_mov_b32_e32 v23, v85
	s_waitcnt lgkmcnt(0)
	v_pk_add_f32 v[52:53], v[10:11], v[16:17]
	v_pk_add_f32 v[54:55], v[16:17], v[10:11] neg_lo:[0,1] neg_hi:[0,1]
	s_mov_b32 s17, 0xbf7ee86f
	v_pk_add_f32 v[20:21], v[22:23], v[20:21]
	v_mov_b32_e32 v22, v55
	v_mov_b32_e32 v23, v53
	s_mov_b32 s4, s17
	s_mov_b32 s5, s16
	v_pk_mul_f32 v[86:87], v[22:23], s[4:5]
	v_mov_b32_e32 v108, v52
	v_mov_b32_e32 v109, v54
	v_pk_fma_f32 v[88:89], v[108:109], s[16:17], v[86:87]
	v_pk_fma_f32 v[22:23], v[108:109], s[16:17], v[86:87] neg_lo:[0,0,1] neg_hi:[0,0,1]
	s_mov_b32 s18, 0xbe8c1d8e
	v_mov_b32_e32 v23, v89
	v_pk_add_f32 v[56:57], v[8:9], v[18:19]
	v_pk_add_f32 v[58:59], v[18:19], v[8:9] neg_lo:[0,1] neg_hi:[0,1]
	s_mov_b32 s19, 0xbf763a35
	v_pk_add_f32 v[28:29], v[22:23], v[20:21]
	v_mov_b32_e32 v20, v59
	v_mov_b32_e32 v21, v57
	s_mov_b32 s4, s19
	s_mov_b32 s5, s18
	v_pk_mul_f32 v[92:93], v[20:21], s[4:5]
	v_add_u32_e32 v20, 0x1400, v170
	v_add_u32_e32 v172, 0x2000, v170
	ds_read2_b64 v[24:27], v20 offset0:32 offset1:144
	ds_read2_b64 v[20:23], v172 offset0:96 offset1:208
	v_mov_b32_e32 v114, v56
	v_mov_b32_e32 v115, v58
	v_pk_fma_f32 v[94:95], v[114:115], s[18:19], v[92:93]
	v_pk_fma_f32 v[30:31], v[114:115], s[18:19], v[92:93] neg_lo:[0,0,1] neg_hi:[0,0,1]
	s_mov_b32 s20, 0xbf1a4643
	v_mov_b32_e32 v31, v95
	s_waitcnt lgkmcnt(0)
	v_pk_add_f32 v[60:61], v[22:23], v[24:25]
	v_pk_add_f32 v[62:63], v[24:25], v[22:23] neg_lo:[0,1] neg_hi:[0,1]
	s_mov_b32 s21, 0xbf4c4adb
	v_pk_add_f32 v[28:29], v[30:31], v[28:29]
	v_mov_b32_e32 v30, v63
	v_mov_b32_e32 v31, v61
	s_mov_b32 s4, s21
	s_mov_b32 s5, s20
	v_pk_mul_f32 v[98:99], v[30:31], s[4:5]
	v_mov_b32_e32 v116, v60
	v_mov_b32_e32 v117, v62
	v_pk_fma_f32 v[100:101], v[116:117], s[20:21], v[98:99]
	v_pk_fma_f32 v[30:31], v[116:117], s[20:21], v[98:99] neg_lo:[0,0,1] neg_hi:[0,0,1]
	s_mov_b32 s22, 0xbf59a7d5
	v_mov_b32_e32 v31, v101
	v_pk_add_f32 v[64:65], v[20:21], v[26:27]
	v_pk_add_f32 v[66:67], v[26:27], v[20:21] neg_lo:[0,1] neg_hi:[0,1]
	s_mov_b32 s23, 0xbf06c442
	v_pk_add_f32 v[38:39], v[30:31], v[28:29]
	v_mov_b32_e32 v28, v67
	v_mov_b32_e32 v29, v65
	s_mov_b32 s4, s23
	s_mov_b32 s5, s22
	v_add_u32_e32 v173, 0x1800, v170
	v_pk_mul_f32 v[104:105], v[28:29], s[4:5]
	ds_read2_b64 v[28:31], v173 offset0:128 offset1:240
	v_mov_b32_e32 v118, v64
	v_mov_b32_e32 v119, v66
	v_pk_fma_f32 v[106:107], v[118:119], s[22:23], v[104:105]
	v_pk_fma_f32 v[70:71], v[118:119], s[22:23], v[104:105] neg_lo:[0,0,1] neg_hi:[0,0,1]
	s_mov_b32 s24, 0xbf7ba420
	v_mov_b32_e32 v71, v107
	v_pk_add_f32 v[38:39], v[70:71], v[38:39]
	s_waitcnt lgkmcnt(0)
	v_pk_add_f32 v[70:71], v[30:31], v[28:29]
	v_pk_add_f32 v[72:73], v[28:29], v[30:31] neg_lo:[0,1] neg_hi:[0,1]
	s_mov_b32 s25, 0xbe3c28d5
	v_mov_b32_e32 v110, v73
	v_mov_b32_e32 v111, v71
	s_mov_b32 s4, s25
	s_mov_b32 s5, s24
	v_pk_mul_f32 v[110:111], v[110:111], s[4:5]
	v_mov_b32_e32 v120, v70
	v_mov_b32_e32 v121, v72
	v_pk_fma_f32 v[112:113], v[120:121], s[24:25], v[110:111]
	v_pk_fma_f32 v[122:123], v[120:121], s[24:25], v[110:111] neg_lo:[0,0,1] neg_hi:[0,0,1]
	s_movk_i32 s4, 0x70
	v_mov_b32_e32 v123, v113
	v_pk_add_f32 v[38:39], v[122:123], v[38:39]
	v_cmp_gt_u32_e32 vcc, s4, v34
	s_barrier
	s_and_saveexec_b64 s[4:5], vcc
	s_cbranch_execz .LBB0_15
; %bb.14:
	v_pk_add_f32 v[2:3], v[0:1], v[2:3]
	s_mov_b32 s38, s13
	v_pk_add_f32 v[2:3], v[2:3], v[12:13]
	v_pk_mul_f32 v[12:13], v[90:91], s[10:11]
	v_pk_add_f32 v[2:3], v[2:3], v[14:15]
	v_pk_mul_f32 v[14:15], v[96:97], s[12:13]
	;; [unrolled: 2-line block ×8, first 2 shown]
	v_pk_add_f32 v[2:3], v[2:3], v[20:21]
	v_pk_mul_f32 v[16:17], v[50:51], s[38:39] op_sel_hi:[1,0]
	v_pk_add_f32 v[2:3], v[2:3], v[22:23]
	v_lshl_add_u32 v174, v34, 7, v170
	v_pk_add_f32 v[2:3], v[2:3], v[8:9]
	s_mov_b32 s36, s17
	v_pk_add_f32 v[2:3], v[2:3], v[10:11]
	v_pk_mul_f32 v[18:19], v[48:49], s[36:37] op_sel_hi:[1,0]
	v_pk_add_f32 v[2:3], v[2:3], v[4:5]
	v_pk_add_f32 v[4:5], v[74:75], v[12:13] neg_lo:[0,1] neg_hi:[0,1]
	v_pk_add_f32 v[2:3], v[2:3], v[6:7]
	v_mov_b32_e32 v77, v5
	v_pk_add_f32 v[6:7], v[78:79], v[14:15] neg_lo:[0,1] neg_hi:[0,1]
	v_pk_add_f32 v[4:5], v[0:1], v[76:77]
	v_mov_b32_e32 v81, v7
	;; [unrolled: 3-line block ×8, first 2 shown]
	v_pk_add_f32 v[2:3], v[2:3], v[68:69]
	v_pk_add_f32 v[4:5], v[112:113], v[4:5]
	ds_write2_b64 v174, v[2:3], v[4:5] offset1:1
	v_pk_fma_f32 v[2:3], v[46:47], s[12:13], v[16:17] op_sel:[0,0,1] op_sel_hi:[1,0,0]
	v_pk_fma_f32 v[4:5], v[46:47], s[12:13], v[16:17] op_sel:[0,0,1] op_sel_hi:[1,0,0] neg_lo:[0,0,1] neg_hi:[0,0,1]
	v_mov_b32_e32 v6, v2
	v_mov_b32_e32 v7, v5
	s_mov_b32 s26, s21
	v_pk_add_f32 v[10:11], v[0:1], v[6:7]
	v_pk_fma_f32 v[6:7], v[44:45], s[16:17], v[18:19] op_sel:[0,0,1] op_sel_hi:[1,0,0]
	v_pk_fma_f32 v[8:9], v[44:45], s[16:17], v[18:19] op_sel:[0,0,1] op_sel_hi:[1,0,0] neg_lo:[0,0,1] neg_hi:[0,0,1]
	v_pk_mul_f32 v[24:25], v[42:43], s[26:27] op_sel_hi:[1,0]
	v_mov_b32_e32 v12, v6
	v_mov_b32_e32 v13, v9
	s_mov_b32 s30, s25
	v_pk_add_f32 v[14:15], v[12:13], v[10:11]
	v_pk_fma_f32 v[10:11], v[40:41], s[20:21], v[24:25] op_sel:[0,0,1] op_sel_hi:[1,0,0]
	v_pk_fma_f32 v[12:13], v[40:41], s[20:21], v[24:25] op_sel:[0,0,1] op_sel_hi:[1,0,0] neg_lo:[0,0,1] neg_hi:[0,0,1]
	v_pk_mul_f32 v[26:27], v[54:55], s[30:31] op_sel_hi:[1,0]
	;; [unrolled: 7-line block ×6, first 2 shown]
	v_mov_b32_e32 v68, v26
	v_mov_b32_e32 v69, v29
	v_pk_add_f32 v[74:75], v[68:69], v[30:31]
	v_pk_fma_f32 v[30:31], v[70:71], s[10:11], v[120:121] op_sel:[0,0,1] op_sel_hi:[1,0,0]
	v_pk_fma_f32 v[68:69], v[70:71], s[10:11], v[120:121] op_sel:[0,0,1] op_sel_hi:[1,0,0] neg_lo:[0,0,1] neg_hi:[0,0,1]
	v_mov_b32_e32 v76, v30
	v_mov_b32_e32 v77, v69
	s_mov_b32 s54, s15
	v_pk_add_f32 v[106:107], v[76:77], v[74:75]
	v_pk_mul_f32 v[76:77], v[50:51], s[54:55] op_sel_hi:[1,0]
	v_pk_mul_f32 v[80:81], v[48:49], s[26:27] op_sel_hi:[1,0]
	v_pk_fma_f32 v[74:75], v[46:47], s[14:15], v[76:77] op_sel:[0,0,1] op_sel_hi:[1,0,0]
	v_pk_fma_f32 v[76:77], v[46:47], s[14:15], v[76:77] op_sel:[0,0,1] op_sel_hi:[1,0,0] neg_lo:[0,0,1] neg_hi:[0,0,1]
	v_mov_b32_e32 v78, v74
	v_mov_b32_e32 v79, v77
	s_mov_b32 s40, 0x3e3c28d5
	v_pk_add_f32 v[82:83], v[0:1], v[78:79]
	v_pk_fma_f32 v[78:79], v[44:45], s[20:21], v[80:81] op_sel:[0,0,1] op_sel_hi:[1,0,0]
	v_pk_fma_f32 v[80:81], v[44:45], s[20:21], v[80:81] op_sel:[0,0,1] op_sel_hi:[1,0,0] neg_lo:[0,0,1] neg_hi:[0,0,1]
	v_pk_mul_f32 v[84:85], v[42:43], s[40:41] op_sel_hi:[1,0]
	v_mov_b32_e32 v86, v78
	v_mov_b32_e32 v87, v81
	v_pk_add_f32 v[86:87], v[86:87], v[82:83]
	v_pk_fma_f32 v[82:83], v[40:41], s[24:25], v[84:85] op_sel:[0,0,1] op_sel_hi:[1,0,0]
	v_pk_fma_f32 v[84:85], v[40:41], s[24:25], v[84:85] op_sel:[0,0,1] op_sel_hi:[1,0,0] neg_lo:[0,0,1] neg_hi:[0,0,1]
	v_pk_mul_f32 v[88:89], v[54:55], s[44:45] op_sel_hi:[1,0]
	v_mov_b32_e32 v90, v82
	v_mov_b32_e32 v91, v85
	s_mov_b32 s40, 0x3f2c7751
	v_pk_add_f32 v[90:91], v[90:91], v[86:87]
	v_pk_fma_f32 v[86:87], v[52:53], s[18:19], v[88:89] op_sel:[0,0,1] op_sel_hi:[1,0,0]
	v_pk_fma_f32 v[88:89], v[52:53], s[18:19], v[88:89] op_sel:[0,0,1] op_sel_hi:[1,0,0] neg_lo:[0,0,1] neg_hi:[0,0,1]
	v_pk_mul_f32 v[92:93], v[58:59], s[40:41] op_sel_hi:[1,0]
	v_mov_b32_e32 v94, v86
	v_mov_b32_e32 v95, v89
	s_mov_b32 s46, s11
	v_pk_add_f32 v[94:95], v[94:95], v[90:91]
	v_pk_fma_f32 v[90:91], v[56:57], s[12:13], v[92:93] op_sel:[0,0,1] op_sel_hi:[1,0,0]
	v_pk_fma_f32 v[92:93], v[56:57], s[12:13], v[92:93] op_sel:[0,0,1] op_sel_hi:[1,0,0] neg_lo:[0,0,1] neg_hi:[0,0,1]
	v_pk_mul_f32 v[96:97], v[62:63], s[46:47] op_sel_hi:[1,0]
	v_mov_b32_e32 v98, v90
	v_mov_b32_e32 v99, v93
	v_pk_add_f32 v[98:99], v[98:99], v[94:95]
	v_pk_fma_f32 v[94:95], v[60:61], s[10:11], v[96:97] op_sel:[0,0,1] op_sel_hi:[1,0,0]
	v_pk_fma_f32 v[96:97], v[60:61], s[10:11], v[96:97] op_sel:[0,0,1] op_sel_hi:[1,0,0] neg_lo:[0,0,1] neg_hi:[0,0,1]
	v_pk_mul_f32 v[100:101], v[66:67], s[36:37] op_sel_hi:[1,0]
	v_mov_b32_e32 v102, v94
	v_mov_b32_e32 v103, v97
	s_mov_b32 s42, s23
	v_pk_add_f32 v[102:103], v[102:103], v[98:99]
	v_pk_fma_f32 v[98:99], v[64:65], s[16:17], v[100:101] op_sel:[0,0,1] op_sel_hi:[1,0,0]
	v_pk_fma_f32 v[100:101], v[64:65], s[16:17], v[100:101] op_sel:[0,0,1] op_sel_hi:[1,0,0] neg_lo:[0,0,1] neg_hi:[0,0,1]
	v_pk_mul_f32 v[104:105], v[72:73], s[42:43] op_sel_hi:[1,0]
	v_mov_b32_e32 v108, v98
	v_mov_b32_e32 v109, v101
	v_pk_add_f32 v[108:109], v[108:109], v[102:103]
	v_pk_fma_f32 v[102:103], v[70:71], s[22:23], v[104:105] op_sel:[0,0,1] op_sel_hi:[1,0,0]
	v_pk_fma_f32 v[104:105], v[70:71], s[22:23], v[104:105] op_sel:[0,0,1] op_sel_hi:[1,0,0] neg_lo:[0,0,1] neg_hi:[0,0,1]
	v_mov_b32_e32 v110, v102
	v_mov_b32_e32 v111, v105
	v_pk_add_f32 v[108:109], v[110:111], v[108:109]
	ds_write2_b64 v174, v[106:107], v[108:109] offset0:2 offset1:3
	v_pk_mul_f32 v[108:109], v[50:51], s[36:37] op_sel_hi:[1,0]
	v_pk_mul_f32 v[112:113], v[48:49], s[30:31] op_sel_hi:[1,0]
	v_pk_fma_f32 v[106:107], v[46:47], s[16:17], v[108:109] op_sel:[0,0,1] op_sel_hi:[1,0,0]
	v_pk_fma_f32 v[108:109], v[46:47], s[16:17], v[108:109] op_sel:[0,0,1] op_sel_hi:[1,0,0] neg_lo:[0,0,1] neg_hi:[0,0,1]
	v_mov_b32_e32 v110, v106
	v_mov_b32_e32 v111, v109
	v_pk_add_f32 v[114:115], v[0:1], v[110:111]
	v_pk_fma_f32 v[110:111], v[44:45], s[24:25], v[112:113] op_sel:[0,0,1] op_sel_hi:[1,0,0]
	v_pk_fma_f32 v[112:113], v[44:45], s[24:25], v[112:113] op_sel:[0,0,1] op_sel_hi:[1,0,0] neg_lo:[0,0,1] neg_hi:[0,0,1]
	v_mov_b32_e32 v116, v110
	v_mov_b32_e32 v117, v113
	v_pk_add_f32 v[118:119], v[116:117], v[114:115]
	v_pk_mul_f32 v[116:117], v[42:43], s[44:45] op_sel_hi:[1,0]
	s_mov_b32 s52, 0x3f4c4adb
	v_pk_fma_f32 v[114:115], v[40:41], s[18:19], v[116:117] op_sel:[0,0,1] op_sel_hi:[1,0,0]
	v_pk_fma_f32 v[116:117], v[40:41], s[18:19], v[116:117] op_sel:[0,0,1] op_sel_hi:[1,0,0] neg_lo:[0,0,1] neg_hi:[0,0,1]
	v_mov_b32_e32 v120, v114
	v_mov_b32_e32 v121, v117
	v_pk_add_f32 v[122:123], v[120:121], v[118:119]
	v_pk_mul_f32 v[120:121], v[54:55], s[34:35] op_sel_hi:[1,0]
	s_mov_b32 s50, s19
	v_pk_fma_f32 v[118:119], v[52:53], s[10:11], v[120:121] op_sel:[0,0,1] op_sel_hi:[1,0,0]
	v_pk_fma_f32 v[120:121], v[52:53], s[10:11], v[120:121] op_sel:[0,0,1] op_sel_hi:[1,0,0] neg_lo:[0,0,1] neg_hi:[0,0,1]
	v_mov_b32_e32 v124, v118
	v_mov_b32_e32 v125, v121
	v_pk_add_f32 v[126:127], v[124:125], v[122:123]
	v_pk_mul_f32 v[124:125], v[58:59], s[54:55] op_sel_hi:[1,0]
	v_pk_mul_f32 v[182:183], v[48:49], s[44:45] op_sel_hi:[1,0]
	v_pk_fma_f32 v[122:123], v[56:57], s[14:15], v[124:125] op_sel:[0,0,1] op_sel_hi:[1,0,0]
	v_pk_fma_f32 v[124:125], v[56:57], s[14:15], v[124:125] op_sel:[0,0,1] op_sel_hi:[1,0,0] neg_lo:[0,0,1] neg_hi:[0,0,1]
	v_mov_b32_e32 v128, v122
	v_mov_b32_e32 v129, v125
	v_pk_add_f32 v[130:131], v[128:129], v[126:127]
	v_pk_mul_f32 v[128:129], v[62:63], s[42:43] op_sel_hi:[1,0]
	v_pk_fma_f32 v[184:185], v[44:45], s[18:19], v[182:183] op_sel:[0,0,1] op_sel_hi:[1,0,0]
	v_pk_fma_f32 v[126:127], v[60:61], s[22:23], v[128:129] op_sel:[0,0,1] op_sel_hi:[1,0,0]
	v_pk_fma_f32 v[128:129], v[60:61], s[22:23], v[128:129] op_sel:[0,0,1] op_sel_hi:[1,0,0] neg_lo:[0,0,1] neg_hi:[0,0,1]
	v_mov_b32_e32 v132, v126
	v_mov_b32_e32 v133, v129
	v_pk_add_f32 v[134:135], v[132:133], v[130:131]
	v_pk_mul_f32 v[132:133], v[66:67], s[52:53] op_sel_hi:[1,0]
	v_pk_fma_f32 v[182:183], v[44:45], s[18:19], v[182:183] op_sel:[0,0,1] op_sel_hi:[1,0,0] neg_lo:[0,0,1] neg_hi:[0,0,1]
	v_pk_fma_f32 v[130:131], v[64:65], s[20:21], v[132:133] op_sel:[0,0,1] op_sel_hi:[1,0,0]
	v_pk_fma_f32 v[132:133], v[64:65], s[20:21], v[132:133] op_sel:[0,0,1] op_sel_hi:[1,0,0] neg_lo:[0,0,1] neg_hi:[0,0,1]
	v_mov_b32_e32 v136, v130
	v_mov_b32_e32 v137, v133
	v_pk_add_f32 v[138:139], v[136:137], v[134:135]
	v_pk_mul_f32 v[136:137], v[72:73], s[40:41] op_sel_hi:[1,0]
	v_mov_b32_e32 v186, v184
	v_pk_fma_f32 v[134:135], v[70:71], s[12:13], v[136:137] op_sel:[0,0,1] op_sel_hi:[1,0,0]
	v_pk_fma_f32 v[136:137], v[70:71], s[12:13], v[136:137] op_sel:[0,0,1] op_sel_hi:[1,0,0] neg_lo:[0,0,1] neg_hi:[0,0,1]
	v_mov_b32_e32 v140, v134
	v_mov_b32_e32 v141, v137
	v_pk_add_f32 v[176:177], v[140:141], v[138:139]
	v_pk_mul_f32 v[138:139], v[50:51], s[50:51] op_sel_hi:[1,0]
	v_mov_b32_e32 v187, v183
	v_pk_fma_f32 v[140:141], v[46:47], s[18:19], v[138:139] op_sel:[0,0,1] op_sel_hi:[1,0,0]
	v_pk_fma_f32 v[138:139], v[46:47], s[18:19], v[138:139] op_sel:[0,0,1] op_sel_hi:[1,0,0] neg_lo:[0,0,1] neg_hi:[0,0,1]
	v_mov_b32_e32 v142, v140
	v_mov_b32_e32 v143, v139
	v_pk_add_f32 v[146:147], v[0:1], v[142:143]
	v_pk_mul_f32 v[142:143], v[48:49], s[48:49] op_sel_hi:[1,0]
	s_mov_b32 s48, 0x3f7ee86f
	v_pk_fma_f32 v[144:145], v[44:45], s[22:23], v[142:143] op_sel:[0,0,1] op_sel_hi:[1,0,0]
	v_pk_fma_f32 v[142:143], v[44:45], s[22:23], v[142:143] op_sel:[0,0,1] op_sel_hi:[1,0,0] neg_lo:[0,0,1] neg_hi:[0,0,1]
	v_mov_b32_e32 v148, v144
	v_mov_b32_e32 v149, v143
	v_pk_add_f32 v[150:151], v[148:149], v[146:147]
	v_pk_mul_f32 v[148:149], v[42:43], s[40:41] op_sel_hi:[1,0]
	v_pk_mul_f32 v[216:217], v[48:49], s[28:29] op_sel_hi:[1,0]
	v_pk_fma_f32 v[146:147], v[40:41], s[12:13], v[148:149] op_sel:[0,0,1] op_sel_hi:[1,0,0]
	v_pk_fma_f32 v[148:149], v[40:41], s[12:13], v[148:149] op_sel:[0,0,1] op_sel_hi:[1,0,0] neg_lo:[0,0,1] neg_hi:[0,0,1]
	v_mov_b32_e32 v152, v146
	v_mov_b32_e32 v153, v149
	v_pk_add_f32 v[154:155], v[152:153], v[150:151]
	v_pk_mul_f32 v[152:153], v[54:55], s[54:55] op_sel_hi:[1,0]
	v_pk_fma_f32 v[218:219], v[44:45], s[14:15], v[216:217] op_sel:[0,0,1] op_sel_hi:[1,0,0]
	v_pk_fma_f32 v[150:151], v[52:53], s[14:15], v[152:153] op_sel:[0,0,1] op_sel_hi:[1,0,0]
	v_pk_fma_f32 v[152:153], v[52:53], s[14:15], v[152:153] op_sel:[0,0,1] op_sel_hi:[1,0,0] neg_lo:[0,0,1] neg_hi:[0,0,1]
	v_mov_b32_e32 v156, v150
	v_mov_b32_e32 v157, v153
	v_pk_add_f32 v[158:159], v[156:157], v[154:155]
	v_pk_mul_f32 v[156:157], v[58:59], s[30:31] op_sel_hi:[1,0]
	v_pk_fma_f32 v[216:217], v[44:45], s[14:15], v[216:217] op_sel:[0,0,1] op_sel_hi:[1,0,0] neg_lo:[0,0,1] neg_hi:[0,0,1]
	v_pk_fma_f32 v[154:155], v[56:57], s[24:25], v[156:157] op_sel:[0,0,1] op_sel_hi:[1,0,0]
	v_pk_fma_f32 v[156:157], v[56:57], s[24:25], v[156:157] op_sel:[0,0,1] op_sel_hi:[1,0,0] neg_lo:[0,0,1] neg_hi:[0,0,1]
	v_mov_b32_e32 v160, v154
	v_mov_b32_e32 v161, v157
	v_pk_add_f32 v[162:163], v[160:161], v[158:159]
	v_pk_mul_f32 v[160:161], v[62:63], s[48:49] op_sel_hi:[1,0]
	v_mov_b32_e32 v220, v218
	v_pk_fma_f32 v[158:159], v[60:61], s[16:17], v[160:161] op_sel:[0,0,1] op_sel_hi:[1,0,0]
	v_pk_fma_f32 v[160:161], v[60:61], s[16:17], v[160:161] op_sel:[0,0,1] op_sel_hi:[1,0,0] neg_lo:[0,0,1] neg_hi:[0,0,1]
	v_mov_b32_e32 v164, v158
	v_mov_b32_e32 v165, v161
	v_pk_add_f32 v[166:167], v[164:165], v[162:163]
	v_pk_mul_f32 v[164:165], v[66:67], s[46:47] op_sel_hi:[1,0]
	v_mov_b32_e32 v221, v217
	v_pk_fma_f32 v[162:163], v[64:65], s[10:11], v[164:165] op_sel:[0,0,1] op_sel_hi:[1,0,0]
	v_pk_fma_f32 v[164:165], v[64:65], s[10:11], v[164:165] op_sel:[0,0,1] op_sel_hi:[1,0,0] neg_lo:[0,0,1] neg_hi:[0,0,1]
	v_mov_b32_e32 v168, v162
	v_mov_b32_e32 v169, v165
	v_pk_add_f32 v[178:179], v[168:169], v[166:167]
	v_pk_mul_f32 v[168:169], v[72:73], s[26:27] op_sel_hi:[1,0]
	v_pk_mul_f32 v[48:49], v[48:49], s[34:35] op_sel_hi:[1,0]
	v_pk_fma_f32 v[166:167], v[70:71], s[20:21], v[168:169] op_sel:[0,0,1] op_sel_hi:[1,0,0]
	v_pk_fma_f32 v[168:169], v[70:71], s[20:21], v[168:169] op_sel:[0,0,1] op_sel_hi:[1,0,0] neg_lo:[0,0,1] neg_hi:[0,0,1]
	v_mov_b32_e32 v180, v166
	v_mov_b32_e32 v181, v169
	v_pk_add_f32 v[178:179], v[180:181], v[178:179]
	ds_write2_b64 v174, v[176:177], v[178:179] offset0:4 offset1:5
	v_pk_mul_f32 v[176:177], v[50:51], s[26:27] op_sel_hi:[1,0]
	v_mov_b32_e32 v217, v219
	v_pk_fma_f32 v[178:179], v[46:47], s[20:21], v[176:177] op_sel:[0,0,1] op_sel_hi:[1,0,0]
	v_pk_fma_f32 v[176:177], v[46:47], s[20:21], v[176:177] op_sel:[0,0,1] op_sel_hi:[1,0,0] neg_lo:[0,0,1] neg_hi:[0,0,1]
	v_mov_b32_e32 v180, v178
	v_mov_b32_e32 v181, v177
	v_pk_add_f32 v[180:181], v[0:1], v[180:181]
	v_mov_b32_e32 v177, v179
	v_pk_add_f32 v[180:181], v[186:187], v[180:181]
	v_pk_mul_f32 v[186:187], v[42:43], s[46:47] op_sel_hi:[1,0]
	v_mov_b32_e32 v183, v185
	v_pk_fma_f32 v[188:189], v[40:41], s[10:11], v[186:187] op_sel:[0,0,1] op_sel_hi:[1,0,0]
	v_pk_fma_f32 v[186:187], v[40:41], s[10:11], v[186:187] op_sel:[0,0,1] op_sel_hi:[1,0,0] neg_lo:[0,0,1] neg_hi:[0,0,1]
	v_mov_b32_e32 v190, v188
	v_mov_b32_e32 v191, v187
	v_pk_add_f32 v[180:181], v[190:191], v[180:181]
	v_pk_mul_f32 v[190:191], v[54:55], s[42:43] op_sel_hi:[1,0]
	v_mov_b32_e32 v187, v189
	v_pk_fma_f32 v[192:193], v[52:53], s[22:23], v[190:191] op_sel:[0,0,1] op_sel_hi:[1,0,0]
	v_pk_fma_f32 v[190:191], v[52:53], s[22:23], v[190:191] op_sel:[0,0,1] op_sel_hi:[1,0,0] neg_lo:[0,0,1] neg_hi:[0,0,1]
	v_mov_b32_e32 v194, v192
	;; [unrolled: 7-line block ×6, first 2 shown]
	v_mov_b32_e32 v211, v207
	v_pk_add_f32 v[180:181], v[210:211], v[180:181]
	v_pk_mul_f32 v[210:211], v[50:51], s[42:43] op_sel_hi:[1,0]
	v_pk_mul_f32 v[50:51], v[50:51], s[30:31] op_sel_hi:[1,0]
	v_pk_fma_f32 v[212:213], v[46:47], s[22:23], v[210:211] op_sel:[0,0,1] op_sel_hi:[1,0,0]
	v_pk_fma_f32 v[210:211], v[46:47], s[22:23], v[210:211] op_sel:[0,0,1] op_sel_hi:[1,0,0] neg_lo:[0,0,1] neg_hi:[0,0,1]
	v_mov_b32_e32 v214, v212
	v_mov_b32_e32 v215, v211
	v_pk_add_f32 v[214:215], v[0:1], v[214:215]
	v_mov_b32_e32 v211, v213
	v_pk_add_f32 v[214:215], v[220:221], v[214:215]
	v_pk_mul_f32 v[220:221], v[42:43], s[36:37] op_sel_hi:[1,0]
	v_pk_mul_f32 v[42:43], v[42:43], s[42:43] op_sel_hi:[1,0]
	v_pk_fma_f32 v[222:223], v[40:41], s[16:17], v[220:221] op_sel:[0,0,1] op_sel_hi:[1,0,0]
	v_pk_fma_f32 v[220:221], v[40:41], s[16:17], v[220:221] op_sel:[0,0,1] op_sel_hi:[1,0,0] neg_lo:[0,0,1] neg_hi:[0,0,1]
	v_mov_b32_e32 v224, v222
	v_mov_b32_e32 v225, v221
	v_pk_add_f32 v[214:215], v[224:225], v[214:215]
	v_pk_mul_f32 v[224:225], v[54:55], s[52:53] op_sel_hi:[1,0]
	v_mov_b32_e32 v221, v223
	v_pk_fma_f32 v[226:227], v[52:53], s[20:21], v[224:225] op_sel:[0,0,1] op_sel_hi:[1,0,0]
	v_pk_fma_f32 v[224:225], v[52:53], s[20:21], v[224:225] op_sel:[0,0,1] op_sel_hi:[1,0,0] neg_lo:[0,0,1] neg_hi:[0,0,1]
	v_mov_b32_e32 v228, v226
	v_mov_b32_e32 v229, v225
	v_pk_add_f32 v[214:215], v[228:229], v[214:215]
	v_pk_mul_f32 v[228:229], v[58:59], s[46:47] op_sel_hi:[1,0]
	v_mov_b32_e32 v225, v227
	;; [unrolled: 7-line block ×5, first 2 shown]
	v_pk_fma_f32 v[242:243], v[70:71], s[18:19], v[240:241] op_sel:[0,0,1] op_sel_hi:[1,0,0]
	v_pk_fma_f32 v[240:241], v[70:71], s[18:19], v[240:241] op_sel:[0,0,1] op_sel_hi:[1,0,0] neg_lo:[0,0,1] neg_hi:[0,0,1]
	v_mov_b32_e32 v244, v242
	v_mov_b32_e32 v245, v241
	v_pk_add_f32 v[214:215], v[244:245], v[214:215]
	ds_write2_b64 v174, v[180:181], v[214:215] offset0:6 offset1:7
	v_pk_fma_f32 v[180:181], v[46:47], s[24:25], v[50:51] op_sel:[0,0,1] op_sel_hi:[1,0,0]
	v_pk_fma_f32 v[46:47], v[46:47], s[24:25], v[50:51] op_sel:[0,0,1] op_sel_hi:[1,0,0] neg_lo:[0,0,1] neg_hi:[0,0,1]
	v_pk_fma_f32 v[50:51], v[44:45], s[10:11], v[48:49] op_sel:[0,0,1] op_sel_hi:[1,0,0]
	v_pk_fma_f32 v[44:45], v[44:45], s[10:11], v[48:49] op_sel:[0,0,1] op_sel_hi:[1,0,0] neg_lo:[0,0,1] neg_hi:[0,0,1]
	v_mov_b32_e32 v48, v180
	v_mov_b32_e32 v49, v47
	v_pk_add_f32 v[48:49], v[0:1], v[48:49]
	v_mov_b32_e32 v214, v50
	v_mov_b32_e32 v215, v45
	v_pk_add_f32 v[48:49], v[214:215], v[48:49]
	v_pk_fma_f32 v[214:215], v[40:41], s[22:23], v[42:43] op_sel:[0,0,1] op_sel_hi:[1,0,0]
	v_pk_fma_f32 v[40:41], v[40:41], s[22:23], v[42:43] op_sel:[0,0,1] op_sel_hi:[1,0,0] neg_lo:[0,0,1] neg_hi:[0,0,1]
	v_mov_b32_e32 v42, v214
	v_mov_b32_e32 v43, v41
	v_pk_add_f32 v[42:43], v[42:43], v[48:49]
	v_pk_mul_f32 v[48:49], v[54:55], s[40:41] op_sel_hi:[1,0]
	v_mov_b32_e32 v47, v181
	v_pk_fma_f32 v[54:55], v[52:53], s[12:13], v[48:49] op_sel:[0,0,1] op_sel_hi:[1,0,0]
	v_pk_fma_f32 v[48:49], v[52:53], s[12:13], v[48:49] op_sel:[0,0,1] op_sel_hi:[1,0,0] neg_lo:[0,0,1] neg_hi:[0,0,1]
	v_mov_b32_e32 v52, v54
	v_mov_b32_e32 v53, v49
	v_pk_add_f32 v[42:43], v[52:53], v[42:43]
	v_pk_mul_f32 v[52:53], v[58:59], s[26:27] op_sel_hi:[1,0]
	v_mov_b32_e32 v45, v51
	v_pk_fma_f32 v[58:59], v[56:57], s[20:21], v[52:53] op_sel:[0,0,1] op_sel_hi:[1,0,0]
	v_pk_fma_f32 v[52:53], v[56:57], s[20:21], v[52:53] op_sel:[0,0,1] op_sel_hi:[1,0,0] neg_lo:[0,0,1] neg_hi:[0,0,1]
	v_mov_b32_e32 v56, v58
	v_mov_b32_e32 v57, v53
	v_pk_add_f32 v[42:43], v[56:57], v[42:43]
	v_pk_mul_f32 v[56:57], v[62:63], s[28:29] op_sel_hi:[1,0]
	v_pk_add_f32 v[46:47], v[0:1], v[46:47]
	v_pk_fma_f32 v[62:63], v[60:61], s[14:15], v[56:57] op_sel:[0,0,1] op_sel_hi:[1,0,0]
	v_pk_fma_f32 v[56:57], v[60:61], s[14:15], v[56:57] op_sel:[0,0,1] op_sel_hi:[1,0,0] neg_lo:[0,0,1] neg_hi:[0,0,1]
	v_mov_b32_e32 v60, v62
	v_mov_b32_e32 v61, v57
	v_pk_add_f32 v[42:43], v[60:61], v[42:43]
	v_pk_mul_f32 v[60:61], v[66:67], s[50:51] op_sel_hi:[1,0]
	v_pk_add_f32 v[44:45], v[44:45], v[46:47]
	v_mov_b32_e32 v41, v215
	v_pk_fma_f32 v[66:67], v[64:65], s[18:19], v[60:61] op_sel:[0,0,1] op_sel_hi:[1,0,0]
	v_pk_fma_f32 v[60:61], v[64:65], s[18:19], v[60:61] op_sel:[0,0,1] op_sel_hi:[1,0,0] neg_lo:[0,0,1] neg_hi:[0,0,1]
	v_pk_add_f32 v[40:41], v[40:41], v[44:45]
	v_mov_b32_e32 v49, v55
	v_mov_b32_e32 v64, v66
	;; [unrolled: 1-line block ×3, first 2 shown]
	v_pk_add_f32 v[40:41], v[48:49], v[40:41]
	v_mov_b32_e32 v53, v59
	v_pk_add_f32 v[42:43], v[64:65], v[42:43]
	v_pk_mul_f32 v[64:65], v[72:73], s[48:49] op_sel_hi:[1,0]
	v_pk_add_f32 v[40:41], v[52:53], v[40:41]
	v_mov_b32_e32 v57, v63
	v_pk_fma_f32 v[72:73], v[70:71], s[16:17], v[64:65] op_sel:[0,0,1] op_sel_hi:[1,0,0]
	v_pk_fma_f32 v[64:65], v[70:71], s[16:17], v[64:65] op_sel:[0,0,1] op_sel_hi:[1,0,0] neg_lo:[0,0,1] neg_hi:[0,0,1]
	v_pk_add_f32 v[40:41], v[56:57], v[40:41]
	v_mov_b32_e32 v61, v67
	v_mov_b32_e32 v70, v72
	;; [unrolled: 1-line block ×3, first 2 shown]
	v_pk_add_f32 v[40:41], v[60:61], v[40:41]
	v_mov_b32_e32 v65, v73
	v_pk_add_f32 v[42:43], v[70:71], v[42:43]
	v_pk_add_f32 v[40:41], v[64:65], v[40:41]
	ds_write2_b64 v174, v[42:43], v[40:41] offset0:8 offset1:9
	v_pk_add_f32 v[40:41], v[0:1], v[210:211]
	v_pk_add_f32 v[42:43], v[0:1], v[176:177]
	;; [unrolled: 1-line block ×13, first 2 shown]
	v_mov_b32_e32 v241, v243
	v_pk_add_f32 v[42:43], v[202:203], v[42:43]
	v_mov_b32_e32 v207, v209
	v_pk_add_f32 v[40:41], v[240:241], v[40:41]
	v_pk_add_f32 v[42:43], v[206:207], v[42:43]
	v_mov_b32_e32 v139, v141
	v_mov_b32_e32 v109, v107
	ds_write2_b64 v174, v[40:41], v[42:43] offset0:10 offset1:11
	v_mov_b32_e32 v143, v145
	v_pk_add_f32 v[40:41], v[0:1], v[138:139]
	v_pk_add_f32 v[42:43], v[0:1], v[108:109]
	v_mov_b32_e32 v113, v111
	v_pk_add_f32 v[40:41], v[142:143], v[40:41]
	v_mov_b32_e32 v149, v147
	;; [unrolled: 2-line block ×13, first 2 shown]
	v_pk_add_f32 v[40:41], v[168:169], v[40:41]
	v_pk_add_f32 v[42:43], v[136:137], v[42:43]
	v_mov_b32_e32 v77, v75
	v_mov_b32_e32 v5, v3
	ds_write2_b64 v174, v[40:41], v[42:43] offset0:12 offset1:13
	v_pk_add_f32 v[40:41], v[0:1], v[76:77]
	v_mov_b32_e32 v81, v79
	v_pk_add_f32 v[0:1], v[0:1], v[4:5]
	v_mov_b32_e32 v9, v7
	;; [unrolled: 2-line block ×14, first 2 shown]
	v_pk_add_f32 v[40:41], v[104:105], v[40:41]
	v_pk_add_f32 v[0:1], v[68:69], v[0:1]
	ds_write2_b64 v174, v[40:41], v[0:1] offset0:14 offset1:15
	ds_write_b64 v174, v[38:39] offset:128
.LBB0_15:
	s_or_b64 exec, exec, s[4:5]
	s_load_dwordx2 s[4:5], s[2:3], 0x0
	v_add_u32_e32 v64, 0x341, v34
	s_mov_b32 s2, 0xf0f1
	v_mul_u32_u24_sdwa v65, v64, s2 dst_sel:DWORD dst_unused:UNUSED_PAD src0_sel:WORD_0 src1_sel:DWORD
	v_lshrrev_b32_e32 v12, 20, v65
	v_add_u32_e32 v30, 0x2ca, v34
	v_mul_lo_u16_e32 v0, 17, v12
	v_sub_u16_e32 v0, v64, v0
	v_mul_u32_u24_sdwa v66, v30, s2 dst_sel:DWORD dst_unused:UNUSED_PAD src0_sel:WORD_0 src1_sel:DWORD
	v_lshlrev_b32_e32 v13, 3, v0
	v_lshrrev_b32_e32 v14, 20, v66
	s_waitcnt lgkmcnt(0)
	s_barrier
	global_load_dwordx2 v[16:17], v13, s[8:9]
	v_add_u32_e32 v40, 0x253, v34
	v_mul_lo_u16_e32 v0, 17, v14
	v_sub_u16_e32 v0, v30, v0
	v_mul_u32_u24_sdwa v67, v40, s2 dst_sel:DWORD dst_unused:UNUSED_PAD src0_sel:WORD_0 src1_sel:DWORD
	v_add_u32_e32 v42, 0x1dc, v34
	v_lshlrev_b32_e32 v15, 3, v0
	global_load_dwordx2 v[18:19], v15, s[8:9]
	v_lshrrev_b32_e32 v48, 20, v67
	v_mul_lo_u16_e32 v0, 17, v48
	v_mul_u32_u24_sdwa v68, v42, s2 dst_sel:DWORD dst_unused:UNUSED_PAD src0_sel:WORD_0 src1_sel:DWORD
	v_sub_u16_e32 v0, v40, v0
	v_lshrrev_b32_e32 v50, 20, v68
	v_add_u32_e32 v28, 0x165, v34
	v_lshlrev_b32_e32 v49, 3, v0
	global_load_dwordx2 v[20:21], v49, s[8:9]
	v_mul_lo_u16_e32 v0, 17, v50
	v_sub_u16_e32 v0, v42, v0
	v_mul_u32_u24_sdwa v69, v28, s2 dst_sel:DWORD dst_unused:UNUSED_PAD src0_sel:WORD_0 src1_sel:DWORD
	v_add_u32_e32 v29, 0xee, v34
	v_lshlrev_b32_e32 v51, 3, v0
	global_load_dwordx2 v[22:23], v51, s[8:9]
	v_lshrrev_b32_e32 v52, 20, v69
	v_mul_lo_u16_e32 v0, 17, v52
	v_mul_u32_u24_sdwa v31, v29, s2 dst_sel:DWORD dst_unused:UNUSED_PAD src0_sel:WORD_0 src1_sel:DWORD
	s_movk_i32 s3, 0xf1
	v_add_u16_e32 v41, 0x77, v34
	v_sub_u16_e32 v0, v28, v0
	v_lshrrev_b32_e32 v54, 20, v31
	v_lshlrev_b32_e32 v53, 3, v0
	v_mul_lo_u16_e32 v0, 17, v54
	v_mul_lo_u16_sdwa v70, v41, s3 dst_sel:DWORD dst_unused:UNUSED_PAD src0_sel:BYTE_0 src1_sel:DWORD
	global_load_dwordx2 v[24:25], v53, s[8:9]
	v_sub_u16_e32 v0, v29, v0
	v_lshrrev_b16_e32 v56, 12, v70
	v_lshlrev_b32_e32 v55, 3, v0
	global_load_dwordx2 v[26:27], v55, s[8:9]
	v_mul_lo_u16_e32 v0, 17, v56
	v_mul_lo_u16_sdwa v71, v34, s3 dst_sel:DWORD dst_unused:UNUSED_PAD src0_sel:BYTE_0 src1_sel:DWORD
	v_sub_u16_e32 v0, v41, v0
	v_mov_b32_e32 v43, 3
	v_lshrrev_b16_e32 v62, 12, v71
	v_lshlrev_b32_sdwa v57, v43, v0 dst_sel:DWORD dst_unused:UNUSED_PAD src0_sel:DWORD src1_sel:BYTE_0
	global_load_dwordx2 v[44:45], v57, s[8:9]
	v_mul_lo_u16_e32 v0, 17, v62
	v_sub_u16_e32 v0, v34, v0
	v_lshlrev_b32_sdwa v63, v43, v0 dst_sel:DWORD dst_unused:UNUSED_PAD src0_sel:DWORD src1_sel:BYTE_0
	global_load_dwordx2 v[46:47], v63, s[8:9]
	s_mov_b32 s2, 0x5040100
	s_movk_i32 s3, 0x110
	v_perm_b32 v14, v14, v48, s2
	v_pk_mul_lo_u16 v14, v14, s3 op_sel_hi:[1,0]
	ds_read2_b64 v[0:3], v173 offset0:65 offset1:184
	ds_read2_b64 v[4:7], v172 offset0:47 offset1:166
	v_and_b32_e32 v48, 0xfff0, v14
	v_perm_b32 v50, v50, v52, s2
	v_add3_u32 v77, 0, v48, v49
	ds_read_b64 v[48:49], v170 offset:14280
	v_pk_mul_lo_u16 v50, v50, s3 op_sel_hi:[1,0]
	v_lshl_add_u32 v60, v42, 3, 0
	v_mul_u32_u24_e32 v54, 0x110, v54
	v_and_b32_e32 v52, 0xfff0, v50
	v_lshrrev_b32_e32 v50, 16, v50
	v_lshrrev_b32_e32 v14, 16, v14
	v_mul_u32_u24_e32 v12, 0x110, v12
	v_lshl_add_u32 v61, v28, 3, 0
	ds_read2_b64 v[8:11], v171 offset0:29 offset1:148
	v_add3_u32 v74, 0, v54, v55
	v_add3_u32 v75, 0, v52, v53
	;; [unrolled: 1-line block ×5, first 2 shown]
	ds_read_b64 v[50:51], v60
	ds_read_b64 v[52:53], v61
	ds_read_b64 v[54:55], v170 offset:1904
	ds_read2_b64 v[12:15], v35 offset0:11 offset1:130
	v_mul_u32_u24_e32 v56, 0x110, v56
	v_lshl_add_u32 v58, v30, 3, 0
	v_mul_u32_u24_e32 v62, 0x110, v62
	v_add3_u32 v73, 0, v56, v57
	v_add3_u32 v72, 0, v62, v63
	v_lshl_add_u32 v59, v40, 3, 0
	v_lshrrev_b32_e32 v65, 21, v65
	s_waitcnt vmcnt(7) lgkmcnt(5)
	v_pk_mul_f32 v[56:57], v[48:49], v[16:17] op_sel:[0,1]
	v_lshrrev_b16_e32 v70, 13, v70
	v_pk_fma_f32 v[62:63], v[48:49], v[16:17], v[56:57] op_sel:[0,0,1] op_sel_hi:[1,1,0]
	v_pk_fma_f32 v[16:17], v[48:49], v[16:17], v[56:57] op_sel:[0,0,1] op_sel_hi:[1,0,0] neg_lo:[0,0,1] neg_hi:[0,0,1]
	ds_read_b64 v[56:57], v58
	v_mov_b32_e32 v63, v17
	v_pk_add_f32 v[16:17], v[0:1], v[62:63] neg_lo:[0,1] neg_hi:[0,1]
	s_waitcnt vmcnt(6) lgkmcnt(1)
	v_pk_mul_f32 v[48:49], v[14:15], v[18:19] op_sel:[0,1]
	v_pk_fma_f32 v[0:1], v[0:1], 2.0, v[16:17] op_sel_hi:[1,0,1] neg_lo:[0,0,1] neg_hi:[0,0,1]
	v_pk_fma_f32 v[62:63], v[14:15], v[18:19], v[48:49] op_sel:[0,0,1] op_sel_hi:[1,1,0]
	v_pk_fma_f32 v[14:15], v[14:15], v[18:19], v[48:49] op_sel:[0,0,1] op_sel_hi:[1,0,0] neg_lo:[0,0,1] neg_hi:[0,0,1]
	v_lshrrev_b16_e32 v71, 13, v71
	v_mov_b32_e32 v63, v15
	ds_read_b64 v[14:15], v59
	s_waitcnt lgkmcnt(1)
	v_pk_add_f32 v[18:19], v[56:57], v[62:63] neg_lo:[0,1] neg_hi:[0,1]
	s_movk_i32 s3, 0x220
	v_pk_fma_f32 v[48:49], v[56:57], 2.0, v[18:19] op_sel_hi:[1,0,1] neg_lo:[0,0,1] neg_hi:[0,0,1]
	s_waitcnt vmcnt(5)
	v_pk_mul_f32 v[56:57], v[12:13], v[20:21] op_sel:[0,1]
	v_cmp_gt_u32_e32 vcc, 34, v34
	v_pk_fma_f32 v[62:63], v[12:13], v[20:21], v[56:57] op_sel:[0,0,1] op_sel_hi:[1,1,0]
	v_pk_fma_f32 v[12:13], v[12:13], v[20:21], v[56:57] op_sel:[0,0,1] op_sel_hi:[1,0,0] neg_lo:[0,0,1] neg_hi:[0,0,1]
	s_waitcnt vmcnt(4)
	v_pk_mul_f32 v[20:21], v[10:11], v[22:23] op_sel:[0,1]
	v_mov_b32_e32 v63, v13
	v_pk_fma_f32 v[56:57], v[10:11], v[22:23], v[20:21] op_sel:[0,0,1] op_sel_hi:[1,1,0]
	v_pk_fma_f32 v[10:11], v[10:11], v[22:23], v[20:21] op_sel:[0,0,1] op_sel_hi:[1,0,0] neg_lo:[0,0,1] neg_hi:[0,0,1]
	s_waitcnt lgkmcnt(0)
	v_pk_add_f32 v[12:13], v[14:15], v[62:63] neg_lo:[0,1] neg_hi:[0,1]
	v_mov_b32_e32 v57, v11
	v_pk_add_f32 v[10:11], v[50:51], v[56:57] neg_lo:[0,1] neg_hi:[0,1]
	v_pk_fma_f32 v[14:15], v[14:15], 2.0, v[12:13] op_sel_hi:[1,0,1] neg_lo:[0,0,1] neg_hi:[0,0,1]
	v_pk_fma_f32 v[20:21], v[50:51], 2.0, v[10:11] op_sel_hi:[1,0,1] neg_lo:[0,0,1] neg_hi:[0,0,1]
	v_lshrrev_b32_e32 v56, 21, v66
	v_lshrrev_b32_e32 v62, 21, v67
	s_waitcnt vmcnt(3)
	v_pk_mul_f32 v[22:23], v[24:25], v[8:9] op_sel:[0,1]
	v_lshrrev_b32_e32 v66, 21, v68
	v_pk_fma_f32 v[50:51], v[24:25], v[8:9], v[22:23] op_sel:[0,0,1] op_sel_hi:[1,1,0]
	v_pk_fma_f32 v[8:9], v[24:25], v[8:9], v[22:23] op_sel:[0,0,1] op_sel_hi:[1,0,0] neg_lo:[1,0,0] neg_hi:[1,0,0]
	v_lshrrev_b32_e32 v68, 21, v69
	v_mov_b32_e32 v51, v9
	s_waitcnt vmcnt(2)
	v_pk_mul_f32 v[8:9], v[26:27], v[6:7] op_sel:[0,1]
	v_pk_add_f32 v[22:23], v[52:53], v[50:51] neg_lo:[0,1] neg_hi:[0,1]
	v_pk_fma_f32 v[50:51], v[26:27], v[6:7], v[8:9] op_sel:[0,0,1] op_sel_hi:[1,1,0]
	v_pk_fma_f32 v[6:7], v[26:27], v[6:7], v[8:9] op_sel:[0,0,1] op_sel_hi:[1,0,0] neg_lo:[1,0,0] neg_hi:[1,0,0]
	v_pk_fma_f32 v[24:25], v[52:53], 2.0, v[22:23] op_sel_hi:[1,0,1] neg_lo:[0,0,1] neg_hi:[0,0,1]
	v_mov_b32_e32 v51, v7
	ds_read2_b64 v[6:9], v170 offset1:119
	v_pk_add_f32 v[26:27], v[54:55], v[50:51] neg_lo:[0,1] neg_hi:[0,1]
	s_waitcnt vmcnt(1)
	v_pk_mul_f32 v[52:53], v[44:45], v[4:5] op_sel:[0,1]
	v_pk_fma_f32 v[50:51], v[54:55], 2.0, v[26:27] op_sel_hi:[1,0,1] neg_lo:[0,0,1] neg_hi:[0,0,1]
	v_pk_fma_f32 v[54:55], v[44:45], v[4:5], v[52:53] op_sel:[0,0,1] op_sel_hi:[1,1,0]
	v_pk_fma_f32 v[4:5], v[44:45], v[4:5], v[52:53] op_sel:[0,0,1] op_sel_hi:[1,0,0] neg_lo:[1,0,0] neg_hi:[1,0,0]
	s_waitcnt vmcnt(0)
	v_pk_mul_f32 v[44:45], v[46:47], v[2:3] op_sel:[0,1]
	v_mov_b32_e32 v55, v5
	v_pk_fma_f32 v[52:53], v[46:47], v[2:3], v[44:45] op_sel:[0,0,1] op_sel_hi:[1,1,0]
	v_pk_fma_f32 v[2:3], v[46:47], v[2:3], v[44:45] op_sel:[0,0,1] op_sel_hi:[1,0,0] neg_lo:[1,0,0] neg_hi:[1,0,0]
	s_waitcnt lgkmcnt(0)
	v_pk_add_f32 v[4:5], v[8:9], v[54:55] neg_lo:[0,1] neg_hi:[0,1]
	v_mov_b32_e32 v53, v3
	v_pk_add_f32 v[2:3], v[6:7], v[52:53] neg_lo:[0,1] neg_hi:[0,1]
	v_pk_fma_f32 v[8:9], v[8:9], 2.0, v[4:5] op_sel_hi:[1,0,1] neg_lo:[0,0,1] neg_hi:[0,0,1]
	v_pk_fma_f32 v[6:7], v[6:7], 2.0, v[2:3] op_sel_hi:[1,0,1] neg_lo:[0,0,1] neg_hi:[0,0,1]
	s_barrier
	ds_write2_b64 v72, v[6:7], v[2:3] offset1:17
	ds_write2_b64 v73, v[8:9], v[4:5] offset1:17
	;; [unrolled: 1-line block ×8, first 2 shown]
	v_mul_lo_u16_e32 v0, 34, v65
	v_sub_u16_e32 v0, v64, v0
	v_lshlrev_b32_e32 v64, 3, v0
	s_waitcnt lgkmcnt(0)
	s_barrier
	global_load_dwordx2 v[12:13], v64, s[8:9] offset:136
	v_mul_lo_u16_e32 v0, 34, v56
	v_sub_u16_e32 v0, v30, v0
	v_lshlrev_b32_e32 v57, 3, v0
	v_mul_lo_u16_e32 v0, 34, v62
	global_load_dwordx2 v[16:17], v57, s[8:9] offset:136
	v_sub_u16_e32 v0, v40, v0
	v_lshlrev_b32_e32 v63, 3, v0
	v_mul_lo_u16_e32 v0, 34, v66
	v_sub_u16_e32 v0, v42, v0
	v_lshlrev_b32_e32 v67, 3, v0
	global_load_dwordx2 v[20:21], v67, s[8:9] offset:136
	global_load_dwordx2 v[18:19], v63, s[8:9] offset:136
	v_mul_lo_u16_e32 v0, 34, v68
	v_sub_u16_e32 v0, v28, v0
	v_lshrrev_b32_e32 v72, 21, v31
	v_lshlrev_b32_e32 v69, 3, v0
	v_mul_lo_u16_e32 v0, 34, v72
	global_load_dwordx2 v[22:23], v69, s[8:9] offset:136
	v_sub_u16_e32 v0, v29, v0
	v_lshlrev_b32_e32 v73, 3, v0
	global_load_dwordx2 v[24:25], v73, s[8:9] offset:136
	v_mul_lo_u16_e32 v0, 34, v70
	v_sub_u16_e32 v0, v41, v0
	v_lshlrev_b32_sdwa v74, v43, v0 dst_sel:DWORD dst_unused:UNUSED_PAD src0_sel:DWORD src1_sel:BYTE_0
	global_load_dwordx2 v[26:27], v74, s[8:9] offset:136
	v_mul_lo_u16_e32 v0, 34, v71
	v_sub_u16_e32 v0, v34, v0
	v_lshlrev_b32_sdwa v75, v43, v0 dst_sel:DWORD dst_unused:UNUSED_PAD src0_sel:DWORD src1_sel:BYTE_0
	global_load_dwordx2 v[48:49], v75, s[8:9] offset:136
	ds_read2_b64 v[0:3], v173 offset0:65 offset1:184
	ds_read2_b64 v[4:7], v172 offset0:47 offset1:166
	ds_read_b64 v[14:15], v170 offset:14280
	ds_read2_b64 v[8:11], v171 offset0:29 offset1:148
	ds_read_b64 v[50:51], v60
	ds_read_b64 v[52:53], v61
	ds_read_b64 v[54:55], v170 offset:1904
	s_waitcnt vmcnt(7) lgkmcnt(4)
	v_pk_mul_f32 v[44:45], v[14:15], v[12:13] op_sel:[0,1]
	s_nop 0
	v_pk_fma_f32 v[46:47], v[14:15], v[12:13], v[44:45] op_sel:[0,0,1] op_sel_hi:[1,1,0]
	v_pk_fma_f32 v[12:13], v[14:15], v[12:13], v[44:45] op_sel:[0,0,1] op_sel_hi:[1,0,0] neg_lo:[0,0,1] neg_hi:[0,0,1]
	s_nop 0
	v_mov_b32_e32 v47, v13
	v_pk_add_f32 v[46:47], v[0:1], v[46:47] neg_lo:[0,1] neg_hi:[0,1]
	ds_read2_b64 v[12:15], v35 offset0:11 offset1:130
	v_pk_fma_f32 v[44:45], v[0:1], 2.0, v[46:47] op_sel_hi:[1,0,1] neg_lo:[0,0,1] neg_hi:[0,0,1]
	v_mul_u32_u24_e32 v0, 0x220, v71
	v_add3_u32 v71, 0, v0, v75
	v_mul_u32_u24_e32 v0, 0x220, v70
	v_add3_u32 v70, 0, v0, v74
	;; [unrolled: 2-line block ×3, first 2 shown]
	v_perm_b32 v0, v66, v68, s2
	v_pk_mul_lo_u16 v0, v0, s3 op_sel_hi:[1,0]
	s_nop 0
	v_and_b32_e32 v1, 0xffe0, v0
	v_lshrrev_b32_e32 v0, 16, v0
	v_add3_u32 v67, 0, v0, v67
	v_perm_b32 v0, v56, v62, s2
	v_pk_mul_lo_u16 v0, v0, s3 op_sel_hi:[1,0]
	v_add3_u32 v66, 0, v1, v69
	v_and_b32_e32 v1, 0xffe0, v0
	v_lshrrev_b32_e32 v0, 16, v0
	v_add3_u32 v69, 0, v0, v57
	ds_read_b64 v[56:57], v58
	v_add3_u32 v68, 0, v1, v63
	s_waitcnt vmcnt(6) lgkmcnt(1)
	v_pk_mul_f32 v[0:1], v[14:15], v[16:17] op_sel:[0,1]
	s_nop 0
	v_pk_fma_f32 v[62:63], v[14:15], v[16:17], v[0:1] op_sel:[0,0,1] op_sel_hi:[1,1,0]
	v_pk_fma_f32 v[0:1], v[14:15], v[16:17], v[0:1] op_sel:[0,0,1] op_sel_hi:[1,0,0] neg_lo:[0,0,1] neg_hi:[0,0,1]
	s_nop 0
	v_mov_b32_e32 v63, v1
	ds_read_b64 v[0:1], v59
	s_waitcnt lgkmcnt(1)
	v_pk_add_f32 v[14:15], v[56:57], v[62:63] neg_lo:[0,1] neg_hi:[0,1]
	s_nop 0
	v_pk_fma_f32 v[16:17], v[56:57], 2.0, v[14:15] op_sel_hi:[1,0,1] neg_lo:[0,0,1] neg_hi:[0,0,1]
	s_waitcnt vmcnt(4)
	v_pk_mul_f32 v[56:57], v[12:13], v[18:19] op_sel:[0,1]
	s_nop 0
	v_pk_fma_f32 v[62:63], v[12:13], v[18:19], v[56:57] op_sel:[0,0,1] op_sel_hi:[1,1,0]
	v_pk_fma_f32 v[12:13], v[12:13], v[18:19], v[56:57] op_sel:[0,0,1] op_sel_hi:[1,0,0] neg_lo:[0,0,1] neg_hi:[0,0,1]
	v_pk_mul_f32 v[18:19], v[10:11], v[20:21] op_sel:[0,1]
	v_mov_b32_e32 v63, v13
	v_pk_fma_f32 v[56:57], v[10:11], v[20:21], v[18:19] op_sel:[0,0,1] op_sel_hi:[1,1,0]
	v_pk_fma_f32 v[10:11], v[10:11], v[20:21], v[18:19] op_sel:[0,0,1] op_sel_hi:[1,0,0] neg_lo:[0,0,1] neg_hi:[0,0,1]
	s_waitcnt vmcnt(3)
	v_pk_mul_f32 v[20:21], v[22:23], v[8:9] op_sel:[0,1]
	v_mov_b32_e32 v57, v11
	v_pk_add_f32 v[10:11], v[50:51], v[56:57] neg_lo:[0,1] neg_hi:[0,1]
	s_waitcnt lgkmcnt(0)
	v_pk_add_f32 v[12:13], v[0:1], v[62:63] neg_lo:[0,1] neg_hi:[0,1]
	v_pk_fma_f32 v[18:19], v[50:51], 2.0, v[10:11] op_sel_hi:[1,0,1] neg_lo:[0,0,1] neg_hi:[0,0,1]
	v_pk_fma_f32 v[50:51], v[22:23], v[8:9], v[20:21] op_sel:[0,0,1] op_sel_hi:[1,1,0]
	v_pk_fma_f32 v[8:9], v[22:23], v[8:9], v[20:21] op_sel:[0,0,1] op_sel_hi:[1,0,0] neg_lo:[1,0,0] neg_hi:[1,0,0]
	v_pk_fma_f32 v[0:1], v[0:1], 2.0, v[12:13] op_sel_hi:[1,0,1] neg_lo:[0,0,1] neg_hi:[0,0,1]
	v_mov_b32_e32 v51, v9
	s_waitcnt vmcnt(2)
	v_pk_mul_f32 v[8:9], v[24:25], v[6:7] op_sel:[0,1]
	v_pk_add_f32 v[20:21], v[52:53], v[50:51] neg_lo:[0,1] neg_hi:[0,1]
	v_pk_fma_f32 v[50:51], v[24:25], v[6:7], v[8:9] op_sel:[0,0,1] op_sel_hi:[1,1,0]
	v_pk_fma_f32 v[6:7], v[24:25], v[6:7], v[8:9] op_sel:[0,0,1] op_sel_hi:[1,0,0] neg_lo:[1,0,0] neg_hi:[1,0,0]
	v_pk_fma_f32 v[22:23], v[52:53], 2.0, v[20:21] op_sel_hi:[1,0,1] neg_lo:[0,0,1] neg_hi:[0,0,1]
	v_mov_b32_e32 v51, v7
	ds_read2_b64 v[6:9], v170 offset1:119
	v_pk_add_f32 v[24:25], v[54:55], v[50:51] neg_lo:[0,1] neg_hi:[0,1]
	s_waitcnt vmcnt(1)
	v_pk_mul_f32 v[52:53], v[26:27], v[4:5] op_sel:[0,1]
	v_pk_fma_f32 v[50:51], v[54:55], 2.0, v[24:25] op_sel_hi:[1,0,1] neg_lo:[0,0,1] neg_hi:[0,0,1]
	v_pk_fma_f32 v[54:55], v[26:27], v[4:5], v[52:53] op_sel:[0,0,1] op_sel_hi:[1,1,0]
	v_pk_fma_f32 v[4:5], v[26:27], v[4:5], v[52:53] op_sel:[0,0,1] op_sel_hi:[1,0,0] neg_lo:[1,0,0] neg_hi:[1,0,0]
	s_waitcnt vmcnt(0)
	v_pk_mul_f32 v[26:27], v[48:49], v[2:3] op_sel:[0,1]
	v_mov_b32_e32 v55, v5
	v_pk_fma_f32 v[52:53], v[48:49], v[2:3], v[26:27] op_sel:[0,0,1] op_sel_hi:[1,1,0]
	v_pk_fma_f32 v[2:3], v[48:49], v[2:3], v[26:27] op_sel:[0,0,1] op_sel_hi:[1,0,0] neg_lo:[1,0,0] neg_hi:[1,0,0]
	s_waitcnt lgkmcnt(0)
	v_pk_add_f32 v[4:5], v[8:9], v[54:55] neg_lo:[0,1] neg_hi:[0,1]
	v_mov_b32_e32 v53, v3
	v_pk_add_f32 v[2:3], v[6:7], v[52:53] neg_lo:[0,1] neg_hi:[0,1]
	v_pk_fma_f32 v[8:9], v[8:9], 2.0, v[4:5] op_sel_hi:[1,0,1] neg_lo:[0,0,1] neg_hi:[0,0,1]
	v_pk_fma_f32 v[6:7], v[6:7], 2.0, v[2:3] op_sel_hi:[1,0,1] neg_lo:[0,0,1] neg_hi:[0,0,1]
	s_barrier
	ds_write2_b64 v71, v[6:7], v[2:3] offset1:34
	ds_write2_b64 v70, v[8:9], v[4:5] offset1:34
	;; [unrolled: 1-line block ×7, first 2 shown]
	v_mul_u32_u24_e32 v0, 0x220, v65
	v_add3_u32 v0, 0, v0, v64
	v_add_u32_e32 v4, 0x800, v170
	ds_write2_b64 v0, v[44:45], v[46:47] offset1:34
	s_waitcnt lgkmcnt(0)
	s_barrier
	ds_read2_b64 v[16:19], v4 offset0:16 offset1:135
	v_add_u32_e32 v4, 0x1000, v170
	ds_read2_b64 v[0:3], v170 offset1:119
	ds_read2_b64 v[8:11], v4 offset0:32 offset1:151
	ds_read2_b64 v[20:23], v173 offset0:48 offset1:167
	;; [unrolled: 1-line block ×5, first 2 shown]
                                        ; implicit-def: $vgpr52
                                        ; implicit-def: $vgpr50
                                        ; implicit-def: $vgpr56
                                        ; implicit-def: $vgpr54
	s_and_saveexec_b64 s[2:3], vcc
	s_cbranch_execz .LBB0_17
; %bb.16:
	ds_read_b64 v[44:45], v170 offset:1904
	ds_read_b64 v[46:47], v170 offset:4080
	;; [unrolled: 1-line block ×7, first 2 shown]
.LBB0_17:
	s_or_b64 exec, exec, s[2:3]
	s_movk_i32 s2, 0x44
	v_add_u32_e32 v35, 0xffffffbc, v34
	v_cmp_gt_u32_e64 s[2:3], s2, v34
	v_mov_b32_e32 v49, 0
	s_waitcnt lgkmcnt(3)
	v_mov_b32_e32 v86, v21
	v_cndmask_b32_e64 v35, v35, v34, s[2:3]
	s_movk_i32 s2, 0x79
	v_mul_lo_u16_sdwa v66, v41, s2 dst_sel:DWORD dst_unused:UNUSED_PAD src0_sel:BYTE_0 src1_sel:DWORD
	v_lshrrev_b16_e32 v91, 13, v66
	v_mul_i32_i24_e32 v48, 6, v35
	v_mul_lo_u16_e32 v66, 0x44, v91
	v_lshl_add_u64 v[82:83], v[48:49], 3, s[8:9]
	v_mov_b32_e32 v48, 6
	v_sub_u16_e32 v41, v41, v66
	global_load_dwordx4 v[62:65], v[82:83], off offset:424
	v_mul_u32_u24_sdwa v48, v41, v48 dst_sel:DWORD dst_unused:UNUSED_PAD src0_sel:BYTE_0 src1_sel:DWORD
	v_lshlrev_b32_e32 v48, 3, v48
	global_load_dwordx4 v[66:69], v48, s[8:9] offset:424
	global_load_dwordx4 v[70:73], v48, s[8:9] offset:408
	;; [unrolled: 1-line block ×3, first 2 shown]
	global_load_dwordx4 v[78:81], v[82:83], off offset:440
	s_movk_i32 s2, 0x43
	global_load_dwordx4 v[82:85], v[82:83], off offset:408
	v_mov_b32_e32 v87, v20
	s_waitcnt lgkmcnt(2)
	v_mov_b32_e32 v88, v25
	v_mov_b32_e32 v89, v24
	;; [unrolled: 1-line block ×3, first 2 shown]
	v_cmp_lt_u32_e64 s[2:3], s2, v34
	v_lshlrev_b32_e32 v25, 3, v35
	v_mov_b32_e32 v48, v19
	v_cndmask_b32_e64 v21, 0, v21, s[2:3]
	v_mov_b32_e32 v90, v11
	s_waitcnt lgkmcnt(1)
	v_mov_b32_e32 v92, v15
	s_waitcnt lgkmcnt(0)
	v_mov_b32_e32 v94, v7
	v_add3_u32 v35, 0, v21, v25
	v_mul_u32_u24_e32 v21, 0xee0, v91
	v_lshlrev_b32_sdwa v25, v43, v41 dst_sel:DWORD dst_unused:UNUSED_PAD src0_sel:DWORD src1_sel:BYTE_0
	v_add3_u32 v41, 0, v21, v25
	s_mov_b32 s10, 0x3f08b237
	s_mov_b32 s18, 0x3d64c772
	;; [unrolled: 1-line block ×10, first 2 shown]
	s_barrier
	s_mov_b32 s14, 0xbf5ff5aa
	s_mov_b32 s16, 0x3f3bfb3b
	s_waitcnt vmcnt(5)
	v_pk_mul_f32 v[98:99], v[62:63], v[86:87]
	v_pk_mul_f32 v[100:101], v[64:65], v[88:89]
	v_mov_b32_e32 v98, v65
	v_mov_b32_e32 v102, v101
	s_waitcnt vmcnt(3)
	v_pk_mul_f32 v[106:107], v[70:71], v[18:19] op_sel_hi:[1,0]
	v_pk_mul_f32 v[108:109], v[72:73], v[10:11] op_sel_hi:[1,0]
	s_waitcnt vmcnt(2)
	v_pk_mul_f32 v[110:111], v[14:15], v[74:75] op_sel_hi:[0,1]
	v_pk_mul_f32 v[112:113], v[6:7], v[76:77] op_sel_hi:[0,1]
	v_mov_b32_e32 v96, v63
	v_pk_mul_f32 v[24:25], v[64:65], v[24:25] op_sel_hi:[1,0]
	v_mov_b32_e32 v100, v99
	v_pk_mul_f32 v[98:99], v[98:99], v[88:89]
	v_pk_fma_f32 v[64:65], v[64:65], v[88:89], v[102:103] neg_lo:[0,0,1] neg_hi:[0,0,1]
	v_mov_b32_e32 v88, v67
	v_pk_fma_f32 v[116:117], v[70:71], v[48:49], v[106:107] op_sel:[0,0,1] op_sel_hi:[1,1,0] neg_lo:[0,0,1] neg_hi:[0,0,1]
	v_pk_fma_f32 v[18:19], v[70:71], v[18:19], v[106:107] op_sel:[0,1,1] op_sel_hi:[1,1,0]
	v_pk_fma_f32 v[70:71], v[72:73], v[90:91], v[108:109] op_sel:[0,0,1] op_sel_hi:[1,1,0] neg_lo:[0,0,1] neg_hi:[0,0,1]
	v_pk_fma_f32 v[10:11], v[72:73], v[10:11], v[108:109] op_sel:[0,1,1] op_sel_hi:[1,1,0]
	;; [unrolled: 2-line block ×4, first 2 shown]
	v_pk_mul_f32 v[20:21], v[62:63], v[20:21] op_sel_hi:[1,0]
	v_pk_mul_f32 v[96:97], v[96:97], v[86:87]
	v_pk_fma_f32 v[62:63], v[62:63], v[86:87], v[100:101] neg_lo:[0,0,1] neg_hi:[0,0,1]
	v_pk_mul_f32 v[86:87], v[22:23], v[66:67]
	v_pk_mul_f32 v[100:101], v[22:23], v[66:67] op_sel:[1,0] op_sel_hi:[0,1]
	v_pk_mul_f32 v[104:105], v[26:27], v[68:69] op_sel:[1,0] op_sel_hi:[0,1]
	;; [unrolled: 1-line block ×3, first 2 shown]
	v_mov_b32_e32 v117, v19
	v_mov_b32_e32 v75, v7
	;; [unrolled: 1-line block ×6, first 2 shown]
	v_pk_add_f32 v[6:7], v[116:117], v[74:75]
	v_pk_mul_f32 v[102:103], v[26:27], v[68:69]
	v_mov_b32_e32 v104, v101
	v_pk_mul_f32 v[100:101], v[26:27], v[100:101] op_sel:[1,0] op_sel_hi:[0,1]
	v_pk_fma_f32 v[26:27], v[26:27], v[68:69], v[114:115] op_sel:[1,0,0] op_sel_hi:[0,1,1] neg_lo:[0,0,1] neg_hi:[0,0,1]
	v_pk_add_f32 v[68:69], v[86:87], v[88:89]
	v_mov_b32_e32 v6, v17
	s_waitcnt vmcnt(0)
	v_pk_mul_f32 v[86:87], v[82:83], v[16:17] op_sel_hi:[1,0]
	v_mov_b32_e32 v71, v11
	v_pk_fma_f32 v[88:89], v[82:83], v[6:7], v[86:87] op_sel:[0,0,1] op_sel_hi:[1,1,0] neg_lo:[0,0,1] neg_hi:[0,0,1]
	v_pk_fma_f32 v[16:17], v[82:83], v[16:17], v[86:87] op_sel:[0,1,1] op_sel_hi:[1,1,0]
	v_mov_b32_e32 v6, v9
	v_mov_b32_e32 v89, v17
	v_pk_mul_f32 v[16:17], v[84:85], v[8:9] op_sel_hi:[1,0]
	v_mov_b32_e32 v25, v88
	v_pk_fma_f32 v[82:83], v[84:85], v[6:7], v[16:17] op_sel:[0,0,1] op_sel_hi:[1,1,0] neg_lo:[0,0,1] neg_hi:[0,0,1]
	v_pk_fma_f32 v[8:9], v[84:85], v[8:9], v[16:17] op_sel:[0,1,1] op_sel_hi:[1,1,0]
	v_mov_b32_e32 v6, v13
	v_mov_b32_e32 v83, v9
	;; [unrolled: 6-line block ×4, first 2 shown]
	v_pk_add_f32 v[4:5], v[88:89], v[12:13]
	v_pk_add_f32 v[8:9], v[88:89], v[12:13] neg_lo:[0,1] neg_hi:[0,1]
	v_pk_add_f32 v[78:79], v[82:83], v[16:17]
	v_pk_add_f32 v[80:81], v[82:83], v[16:17] neg_lo:[0,1] neg_hi:[0,1]
	v_pk_add_f32 v[12:13], v[24:25], v[98:99]
	v_pk_add_f32 v[16:17], v[20:21], v[96:97]
	v_mov_b32_e32 v65, v12
	v_mov_b32_e32 v63, v16
	v_pk_add_f32 v[20:21], v[64:65], v[62:63] neg_lo:[0,1] neg_hi:[0,1]
	v_mov_b32_e32 v86, v79
	v_mov_b32_e32 v87, v62
	;; [unrolled: 1-line block ×4, first 2 shown]
	v_pk_add_f32 v[62:63], v[86:87], v[62:63]
	v_pk_add_f32 v[64:65], v[16:17], v[12:13]
	v_mov_b32_e32 v24, v20
	v_mov_b32_e32 v25, v9
	;; [unrolled: 1-line block ×6, first 2 shown]
	v_pk_add_f32 v[24:25], v[24:25], v[82:83] neg_lo:[0,1] neg_hi:[0,1]
	v_mov_b32_e32 v82, v8
	v_mov_b32_e32 v84, v20
	;; [unrolled: 1-line block ×3, first 2 shown]
	v_pk_add_f32 v[86:87], v[12:13], v[86:87] neg_lo:[0,1] neg_hi:[0,1]
	v_mov_b32_e32 v88, v5
	v_mov_b32_e32 v89, v63
	;; [unrolled: 1-line block ×3, first 2 shown]
	v_pk_add_f32 v[62:63], v[62:63], v[64:65]
	v_pk_mul_f32 v[24:25], v[24:25], s[10:11]
	v_pk_add_f32 v[82:83], v[82:83], v[84:85] neg_lo:[0,1] neg_hi:[0,1]
	v_pk_add_f32 v[20:21], v[20:21], v[80:81]
	v_pk_add_f32 v[88:89], v[88:89], v[16:17] neg_lo:[0,1] neg_hi:[0,1]
	v_pk_add_f32 v[0:1], v[62:63], v[0:1]
	v_pk_mul_f32 v[64:65], v[86:87], s[18:19]
	v_pk_mul_f32 v[84:85], v[82:83], s[12:13]
	v_pk_add_f32 v[20:21], v[20:21], v[8:9]
	v_pk_mul_f32 v[86:87], v[88:89], s[20:21]
	v_pk_fma_f32 v[62:63], v[62:63], s[22:23], v[0:1] op_sel_hi:[1,0,1] neg_lo:[1,0,0] neg_hi:[1,0,0]
	v_pk_fma_f32 v[88:89], v[88:89], s[20:21], v[64:65]
	v_pk_fma_f32 v[82:83], v[82:83], s[12:13], v[24:25]
	v_pk_add_f32 v[88:89], v[88:89], v[62:63]
	v_pk_fma_f32 v[82:83], v[20:21], s[2:3], v[82:83] op_sel_hi:[1,0,1]
	v_mov_b32_e32 v16, v79
	v_pk_add_f32 v[90:91], v[88:89], v[82:83]
	v_pk_add_f32 v[82:83], v[88:89], v[82:83] neg_lo:[0,1] neg_hi:[0,1]
	v_mov_b32_e32 v88, v90
	v_mov_b32_e32 v89, v83
	v_mov_b32_e32 v12, v5
	ds_write2_b64 v35, v[0:1], v[88:89] offset1:68
	v_pk_add_f32 v[0:1], v[80:81], v[8:9] neg_lo:[0,1] neg_hi:[0,1]
	v_pk_add_f32 v[4:5], v[16:17], v[12:13] neg_lo:[0,1] neg_hi:[0,1]
	v_mov_b32_e32 v8, v86
	v_mov_b32_e32 v9, v65
	;; [unrolled: 1-line block ×6, first 2 shown]
	v_pk_fma_f32 v[8:9], v[4:5], s[16:17], v[8:9] op_sel_hi:[1,0,1] neg_lo:[1,0,1] neg_hi:[1,0,1]
	v_pk_fma_f32 v[12:13], v[0:1], s[14:15], v[12:13] op_sel_hi:[1,0,1] neg_lo:[1,0,1] neg_hi:[1,0,1]
	;; [unrolled: 1-line block ×4, first 2 shown]
	v_pk_add_f32 v[8:9], v[8:9], v[62:63]
	v_pk_fma_f32 v[12:13], v[20:21], s[2:3], v[12:13] op_sel_hi:[1,0,1]
	v_pk_add_f32 v[4:5], v[4:5], v[62:63]
	v_pk_fma_f32 v[0:1], v[20:21], s[2:3], v[0:1] op_sel_hi:[1,0,1]
	v_pk_add_f32 v[16:17], v[8:9], v[12:13]
	v_pk_add_f32 v[8:9], v[8:9], v[12:13] neg_lo:[0,1] neg_hi:[0,1]
	v_pk_add_f32 v[20:21], v[4:5], v[0:1] neg_lo:[0,1] neg_hi:[0,1]
	v_pk_add_f32 v[0:1], v[4:5], v[0:1]
	v_mov_b32_e32 v73, v15
	v_mov_b32_e32 v103, v116
	v_mov_b32_e32 v101, v74
	v_mov_b32_e32 v12, v16
	v_mov_b32_e32 v13, v9
	v_mov_b32_e32 v4, v20
	v_mov_b32_e32 v5, v1
	v_pk_fma_f32 v[22:23], v[22:23], v[66:67], v[104:105] op_sel:[1,0,0] op_sel_hi:[0,1,1] neg_lo:[0,0,1] neg_hi:[0,0,1]
	v_pk_add_f32 v[14:15], v[70:71], v[72:73]
	v_pk_add_f32 v[66:67], v[102:103], v[100:101]
	ds_write2_b64 v35, v[12:13], v[4:5] offset0:136 offset1:204
	v_mov_b32_e32 v1, v21
	v_mov_b32_e32 v9, v17
	v_add_u32_e32 v4, 0x800, v35
	v_mov_b32_e32 v27, v66
	v_mov_b32_e32 v23, v68
	ds_write2_b64 v4, v[0:1], v[8:9] offset0:16 offset1:84
	v_mov_b32_e32 v0, v15
	v_mov_b32_e32 v1, v22
	;; [unrolled: 1-line block ×4, first 2 shown]
	v_pk_add_f32 v[10:11], v[116:117], v[74:75] neg_lo:[0,1] neg_hi:[0,1]
	v_pk_add_f32 v[18:19], v[70:71], v[72:73] neg_lo:[0,1] neg_hi:[0,1]
	v_pk_add_f32 v[74:75], v[26:27], v[22:23] neg_lo:[0,1] neg_hi:[0,1]
	v_pk_add_f32 v[0:1], v[0:1], v[4:5]
	v_pk_add_f32 v[4:5], v[68:69], v[66:67]
	v_mov_b32_e32 v71, v11
	v_mov_b32_e32 v72, v18
	;; [unrolled: 1-line block ×7, first 2 shown]
	v_pk_add_f32 v[70:71], v[70:71], v[72:73] neg_lo:[0,1] neg_hi:[0,1]
	v_mov_b32_e32 v72, v10
	v_mov_b32_e32 v76, v74
	;; [unrolled: 1-line block ×3, first 2 shown]
	v_pk_add_f32 v[8:9], v[66:67], v[8:9] neg_lo:[0,1] neg_hi:[0,1]
	v_mov_b32_e32 v12, v7
	v_mov_b32_e32 v13, v1
	;; [unrolled: 1-line block ×3, first 2 shown]
	v_pk_add_f32 v[0:1], v[0:1], v[4:5]
	v_pk_mul_f32 v[70:71], v[70:71], s[10:11]
	v_pk_add_f32 v[72:73], v[72:73], v[76:77] neg_lo:[0,1] neg_hi:[0,1]
	v_pk_add_f32 v[74:75], v[74:75], v[18:19]
	v_pk_add_f32 v[12:13], v[12:13], v[68:69] neg_lo:[0,1] neg_hi:[0,1]
	v_pk_add_f32 v[2:3], v[0:1], v[2:3]
	v_pk_mul_f32 v[4:5], v[8:9], s[18:19]
	v_pk_add_f32 v[74:75], v[74:75], v[10:11]
	v_pk_mul_f32 v[8:9], v[12:13], s[20:21]
	v_pk_fma_f32 v[0:1], v[0:1], s[22:23], v[2:3] op_sel_hi:[1,0,1] neg_lo:[1,0,0] neg_hi:[1,0,0]
	v_pk_fma_f32 v[12:13], v[12:13], s[20:21], v[4:5]
	v_pk_fma_f32 v[16:17], v[72:73], s[12:13], v[70:71]
	v_pk_add_f32 v[12:13], v[12:13], v[0:1]
	v_pk_fma_f32 v[16:17], v[74:75], s[2:3], v[16:17] op_sel_hi:[1,0,1]
	v_pk_mul_f32 v[76:77], v[72:73], s[12:13]
	v_pk_add_f32 v[20:21], v[12:13], v[16:17]
	v_pk_add_f32 v[12:13], v[12:13], v[16:17] neg_lo:[0,1] neg_hi:[0,1]
	v_mov_b32_e32 v83, v91
	v_mov_b32_e32 v16, v20
	;; [unrolled: 1-line block ×5, first 2 shown]
	ds_write_b64 v35, v[82:83] offset:3264
	ds_write2_b64 v41, v[2:3], v[16:17] offset1:68
	v_pk_add_f32 v[2:3], v[18:19], v[10:11] neg_lo:[0,1] neg_hi:[0,1]
	v_pk_add_f32 v[6:7], v[68:69], v[66:67] neg_lo:[0,1] neg_hi:[0,1]
	v_mov_b32_e32 v10, v8
	v_mov_b32_e32 v11, v5
	;; [unrolled: 1-line block ×6, first 2 shown]
	v_pk_fma_f32 v[10:11], v[6:7], s[16:17], v[10:11] op_sel_hi:[1,0,1] neg_lo:[1,0,1] neg_hi:[1,0,1]
	v_pk_fma_f32 v[14:15], v[2:3], s[14:15], v[14:15] op_sel_hi:[1,0,1] neg_lo:[1,0,1] neg_hi:[1,0,1]
	;; [unrolled: 1-line block ×4, first 2 shown]
	v_pk_add_f32 v[10:11], v[10:11], v[0:1]
	v_pk_fma_f32 v[14:15], v[74:75], s[2:3], v[14:15] op_sel_hi:[1,0,1]
	v_pk_add_f32 v[0:1], v[4:5], v[0:1]
	v_pk_fma_f32 v[2:3], v[74:75], s[2:3], v[2:3] op_sel_hi:[1,0,1]
	v_pk_add_f32 v[16:17], v[10:11], v[14:15]
	v_pk_add_f32 v[10:11], v[10:11], v[14:15] neg_lo:[0,1] neg_hi:[0,1]
	v_pk_add_f32 v[4:5], v[0:1], v[2:3] neg_lo:[0,1] neg_hi:[0,1]
	v_pk_add_f32 v[0:1], v[0:1], v[2:3]
	v_mov_b32_e32 v14, v16
	v_mov_b32_e32 v15, v11
	;; [unrolled: 1-line block ×4, first 2 shown]
	ds_write2_b64 v41, v[14:15], v[2:3] offset0:136 offset1:204
	v_mov_b32_e32 v1, v5
	v_mov_b32_e32 v11, v17
	v_add_u32_e32 v2, 0x800, v41
	v_mov_b32_e32 v13, v21
	ds_write2_b64 v2, v[0:1], v[10:11] offset0:16 offset1:84
	ds_write_b64 v41, v[12:13] offset:3264
	s_and_saveexec_b64 s[22:23], vcc
	s_cbranch_execz .LBB0_19
; %bb.18:
	v_lshrrev_b32_e32 v0, 22, v31
	v_mul_lo_u16_e32 v0, 0x44, v0
	v_sub_u16_e32 v17, v29, v0
	v_mul_u32_u24_e32 v0, 6, v17
	v_lshlrev_b32_e32 v12, 3, v0
	global_load_dwordx4 v[0:3], v12, s[8:9] offset:408
	global_load_dwordx4 v[4:7], v12, s[8:9] offset:440
	;; [unrolled: 1-line block ×3, first 2 shown]
	v_mov_b32_e32 v12, v53
	v_mov_b32_e32 v13, v52
	;; [unrolled: 1-line block ×6, first 2 shown]
	v_lshl_add_u32 v29, v17, 3, 0
	s_mov_b32 s24, 0xbf955555
	v_add_u32_e32 v31, 0x2800, v29
	s_waitcnt vmcnt(2)
	v_pk_mul_f32 v[20:21], v[46:47], v[0:1] op_sel_hi:[0,1]
	s_waitcnt vmcnt(1)
	v_pk_mul_f32 v[22:23], v[56:57], v[6:7] op_sel_hi:[0,1]
	s_waitcnt vmcnt(0)
	v_pk_mul_f32 v[24:25], v[52:53], v[10:11]
	v_mov_b32_e32 v26, v11
	v_mov_b32_e32 v48, v9
	v_pk_mul_f32 v[52:53], v[38:39], v[2:3] op_sel_hi:[0,1]
	v_pk_mul_f32 v[54:55], v[54:55], v[4:5] op_sel_hi:[0,1]
	v_pk_mul_f32 v[56:57], v[14:15], v[8:9]
	v_pk_mul_f32 v[62:63], v[12:13], v[10:11]
	;; [unrolled: 1-line block ×5, first 2 shown]
	v_mov_b32_e32 v56, v63
	v_pk_fma_f32 v[62:63], v[16:17], v[6:7], v[22:23] op_sel:[0,0,1] op_sel_hi:[0,1,0] neg_lo:[0,0,1] neg_hi:[0,0,1]
	v_pk_fma_f32 v[6:7], v[16:17], v[6:7], v[22:23] op_sel:[0,0,1] op_sel_hi:[0,1,0]
	v_pk_fma_f32 v[16:17], v[46:47], v[0:1], v[20:21] op_sel:[1,0,1] op_sel_hi:[1,1,0] neg_lo:[0,0,1] neg_hi:[0,0,1]
	v_pk_fma_f32 v[0:1], v[46:47], v[0:1], v[20:21] op_sel:[1,0,1] op_sel_hi:[1,1,0]
	;; [unrolled: 2-line block ×4, first 2 shown]
	v_mov_b32_e32 v48, v57
	v_mov_b32_e32 v63, v7
	;; [unrolled: 1-line block ×9, first 2 shown]
	v_pk_fma_f32 v[8:9], v[14:15], v[8:9], v[48:49] neg_lo:[0,0,1] neg_hi:[0,0,1]
	v_pk_fma_f32 v[10:11], v[12:13], v[10:11], v[56:57] neg_lo:[0,0,1] neg_hi:[0,0,1]
	v_pk_add_f32 v[0:1], v[16:17], v[62:63]
	v_pk_add_f32 v[2:3], v[18:19], v[20:21]
	;; [unrolled: 1-line block ×4, first 2 shown]
	v_pk_add_f32 v[4:5], v[16:17], v[62:63] neg_lo:[0,1] neg_hi:[0,1]
	v_pk_add_f32 v[6:7], v[18:19], v[20:21] neg_lo:[0,1] neg_hi:[0,1]
	v_mov_b32_e32 v17, v8
	v_mov_b32_e32 v19, v10
	;; [unrolled: 1-line block ×6, first 2 shown]
	v_pk_add_f32 v[26:27], v[14:15], v[12:13]
	v_pk_add_f32 v[8:9], v[10:11], v[8:9] neg_lo:[0,1] neg_hi:[0,1]
	v_pk_add_f32 v[10:11], v[16:17], v[18:19]
	v_mov_b32_e32 v20, v4
	v_mov_b32_e32 v23, v7
	v_pk_add_f32 v[38:39], v[6:7], v[4:5] neg_lo:[0,1] neg_hi:[0,1]
	v_mov_b32_e32 v21, v9
	v_mov_b32_e32 v22, v8
	v_pk_add_f32 v[16:17], v[8:9], v[6:7]
	v_mov_b32_e32 v24, v8
	v_mov_b32_e32 v8, v6
	v_pk_add_f32 v[6:7], v[10:11], v[26:27]
	v_mov_b32_e32 v10, v1
	v_mov_b32_e32 v27, v15
	;; [unrolled: 1-line block ×3, first 2 shown]
	v_pk_add_f32 v[18:19], v[20:21], v[22:23] neg_lo:[0,1] neg_hi:[0,1]
	v_pk_add_f32 v[20:21], v[10:11], v[26:27] neg_lo:[0,1] neg_hi:[0,1]
	v_mov_b32_e32 v27, v13
	v_mov_b32_e32 v10, v3
	v_pk_add_f32 v[8:9], v[24:25], v[8:9] neg_lo:[0,1] neg_hi:[0,1]
	v_pk_add_f32 v[10:11], v[26:27], v[10:11] neg_lo:[0,1] neg_hi:[0,1]
	v_pk_add_f32 v[4:5], v[16:17], v[4:5]
	v_pk_add_f32 v[16:17], v[44:45], v[6:7]
	v_pk_mul_f32 v[8:9], v[8:9], s[10:11]
	v_pk_mul_f32 v[10:11], v[10:11], s[18:19]
	;; [unrolled: 1-line block ×4, first 2 shown]
	v_pk_fma_f32 v[6:7], v[6:7], s[24:25], v[16:17] op_sel_hi:[1,0,1]
	v_pk_fma_f32 v[18:19], v[18:19], s[12:13], v[8:9]
	v_pk_fma_f32 v[20:21], v[20:21], s[20:21], v[10:11]
	v_pk_fma_f32 v[18:19], v[4:5], s[2:3], v[18:19] op_sel_hi:[1,0,1]
	v_pk_add_f32 v[20:21], v[20:21], v[6:7]
	v_mov_b32_e32 v14, v3
	v_pk_add_f32 v[44:45], v[20:21], v[18:19]
	v_pk_add_f32 v[18:19], v[20:21], v[18:19] neg_lo:[0,1] neg_hi:[0,1]
	v_mov_b32_e32 v12, v1
	v_mov_b32_e32 v26, v22
	;; [unrolled: 1-line block ×5, first 2 shown]
	v_pk_add_f32 v[0:1], v[14:15], v[12:13] neg_lo:[0,1] neg_hi:[0,1]
	v_mov_b32_e32 v2, v24
	v_mov_b32_e32 v3, v11
	;; [unrolled: 1-line block ×4, first 2 shown]
	ds_write2_b64 v31, v[16:17], v[20:21] offset0:148 offset1:216
	v_pk_fma_f32 v[16:17], v[38:39], s[14:15], v[26:27] op_sel_hi:[1,0,1] neg_lo:[1,0,1] neg_hi:[1,0,1]
	v_pk_fma_f32 v[2:3], v[0:1], s[16:17], v[2:3] op_sel_hi:[1,0,1] neg_lo:[1,0,1] neg_hi:[1,0,1]
	;; [unrolled: 1-line block ×4, first 2 shown]
	v_pk_fma_f32 v[16:17], v[4:5], s[2:3], v[16:17] op_sel_hi:[1,0,1]
	v_pk_add_f32 v[2:3], v[2:3], v[6:7]
	v_pk_fma_f32 v[4:5], v[4:5], s[2:3], v[8:9] op_sel_hi:[1,0,1]
	v_pk_add_f32 v[0:1], v[0:1], v[6:7]
	v_pk_add_f32 v[12:13], v[2:3], v[16:17]
	v_pk_add_f32 v[2:3], v[2:3], v[16:17] neg_lo:[0,1] neg_hi:[0,1]
	v_pk_add_f32 v[6:7], v[0:1], v[4:5] neg_lo:[0,1] neg_hi:[0,1]
	v_pk_add_f32 v[0:1], v[0:1], v[4:5]
	v_mov_b32_e32 v14, v12
	v_mov_b32_e32 v15, v3
	;; [unrolled: 1-line block ×4, first 2 shown]
	v_add_u32_e32 v6, 0x3000, v29
	v_mov_b32_e32 v1, v7
	v_mov_b32_e32 v3, v13
	;; [unrolled: 1-line block ×3, first 2 shown]
	ds_write2_b64 v6, v[14:15], v[4:5] offset0:28 offset1:96
	ds_write2_b64 v6, v[0:1], v[2:3] offset0:164 offset1:232
	ds_write_b64 v29, v[18:19] offset:14688
.LBB0_19:
	s_or_b64 exec, exec, s[22:23]
	v_mul_u32_u24_e32 v0, 3, v34
	v_lshlrev_b32_e32 v48, 3, v0
	s_movk_i32 s10, 0x1000
	v_lshl_add_u64 v[12:13], s[8:9], 0, v[48:49]
	s_waitcnt lgkmcnt(0)
	s_barrier
	global_load_dwordx2 v[38:39], v48, s[8:9] offset:3688
	global_load_dwordx4 v[0:3], v48, s[8:9] offset:3672
	s_mov_b64 s[2:3], 0x1980
	v_add_co_u32_e32 v10, vcc, s10, v12
	v_lshl_add_u64 v[8:9], v[12:13], 0, s[2:3]
	s_nop 0
	v_addc_co_u32_e32 v11, vcc, 0, v13, vcc
	s_movk_i32 s2, 0x2000
	global_load_dwordx4 v[4:7], v[10:11], off offset:2432
	global_load_dwordx2 v[56:57], v[8:9], off offset:16
	v_add_co_u32_e32 v8, vcc, s2, v12
	s_mov_b64 s[2:3], 0x24a8
	s_nop 0
	v_addc_co_u32_e32 v9, vcc, 0, v13, vcc
	global_load_dwordx4 v[8:11], v[8:9], off offset:1192
	v_lshl_add_u64 v[12:13], v[12:13], 0, s[2:3]
	global_load_dwordx2 v[62:63], v[12:13], off offset:16
	v_mul_u32_u24_e32 v12, 3, v28
	v_lshlrev_b32_e32 v16, 3, v12
	global_load_dwordx4 v[12:15], v16, s[8:9] offset:3672
	global_load_dwordx2 v[64:65], v16, s[8:9] offset:3688
	v_add_u32_e32 v20, 0x1800, v170
	v_add_u32_e32 v24, 0x2800, v170
	ds_read2_b64 v[16:19], v170 offset1:119
	v_add_u32_e32 v29, 0x1000, v170
	ds_read_b64 v[66:67], v170 offset:1904
	v_add_u32_e32 v31, 0x2000, v170
	v_add_u32_e32 v35, 0x3000, v170
	ds_read2_b64 v[20:23], v20 offset0:65 offset1:184
	ds_read2_b64 v[24:27], v24 offset0:29 offset1:148
	ds_read_b64 v[68:69], v60
	ds_read2_b64 v[44:47], v29 offset0:83 offset1:202
	ds_read2_b64 v[48:51], v31 offset0:47 offset1:166
	;; [unrolled: 1-line block ×3, first 2 shown]
	ds_read_b64 v[70:71], v61
	s_add_u32 s2, s8, 0x3af8
	s_addc_u32 s3, s9, 0
	v_cmp_ne_u32_e32 vcc, 0, v34
	s_waitcnt vmcnt(7) lgkmcnt(5)
	v_pk_mul_f32 v[76:77], v[38:39], v[26:27] op_sel:[0,1]
	s_waitcnt vmcnt(6) lgkmcnt(4)
	v_pk_mul_f32 v[72:73], v[0:1], v[68:69] op_sel:[0,1]
	v_pk_mul_f32 v[74:75], v[2:3], v[22:23] op_sel:[0,1]
	v_pk_fma_f32 v[78:79], v[0:1], v[68:69], v[72:73] op_sel:[0,0,1] op_sel_hi:[1,1,0]
	v_pk_fma_f32 v[0:1], v[0:1], v[68:69], v[72:73] op_sel:[0,0,1] op_sel_hi:[1,0,0] neg_lo:[1,0,0] neg_hi:[1,0,0]
	v_pk_fma_f32 v[68:69], v[2:3], v[22:23], v[74:75] op_sel:[0,0,1] op_sel_hi:[1,1,0]
	v_pk_fma_f32 v[2:3], v[2:3], v[22:23], v[74:75] op_sel:[0,0,1] op_sel_hi:[1,0,0] neg_lo:[1,0,0] neg_hi:[1,0,0]
	v_pk_fma_f32 v[22:23], v[38:39], v[26:27], v[76:77] op_sel:[0,0,1] op_sel_hi:[1,1,0]
	v_pk_fma_f32 v[26:27], v[38:39], v[26:27], v[76:77] op_sel:[0,0,1] op_sel_hi:[1,0,0] neg_lo:[1,0,0] neg_hi:[1,0,0]
	v_mov_b32_e32 v79, v1
	s_waitcnt vmcnt(5) lgkmcnt(3)
	v_pk_mul_f32 v[0:1], v[4:5], v[44:45] op_sel:[0,1]
	v_mov_b32_e32 v2, v7
	v_mov_b32_e32 v69, v3
	;; [unrolled: 1-line block ×3, first 2 shown]
	v_pk_fma_f32 v[74:75], v[4:5], v[44:45], v[0:1] op_sel:[0,0,1] op_sel_hi:[1,1,0]
	v_pk_fma_f32 v[0:1], v[4:5], v[44:45], v[0:1] op_sel:[0,0,1] op_sel_hi:[1,0,0] neg_lo:[1,0,0] neg_hi:[1,0,0]
	s_waitcnt lgkmcnt(2)
	v_pk_mul_f32 v[2:3], v[48:49], v[2:3] op_sel_hi:[1,0]
	s_waitcnt vmcnt(4) lgkmcnt(1)
	v_pk_mul_f32 v[26:27], v[52:53], v[56:57] op_sel:[0,1]
	s_waitcnt vmcnt(3)
	v_pk_mul_f32 v[38:39], v[46:47], v[8:9] op_sel:[0,1]
	v_mov_b32_e32 v72, v11
	v_pk_add_f32 v[68:69], v[16:17], v[68:69] neg_lo:[0,1] neg_hi:[0,1]
	v_pk_add_f32 v[22:23], v[78:79], v[22:23] neg_lo:[0,1] neg_hi:[0,1]
	v_mov_b32_e32 v75, v1
	v_pk_fma_f32 v[0:1], v[48:49], v[6:7], v[2:3] op_sel:[0,0,1] op_sel_hi:[1,1,0]
	v_pk_fma_f32 v[2:3], v[48:49], v[6:7], v[2:3] op_sel:[0,0,1] op_sel_hi:[1,0,0] neg_lo:[0,0,1] neg_hi:[0,0,1]
	v_pk_fma_f32 v[4:5], v[52:53], v[56:57], v[26:27] op_sel:[0,0,1] op_sel_hi:[1,1,0]
	v_pk_fma_f32 v[26:27], v[52:53], v[56:57], v[26:27] op_sel:[0,0,1] op_sel_hi:[1,0,0] neg_lo:[0,0,1] neg_hi:[0,0,1]
	v_pk_fma_f32 v[44:45], v[46:47], v[8:9], v[38:39] op_sel:[0,0,1] op_sel_hi:[1,1,0]
	v_pk_fma_f32 v[8:9], v[46:47], v[8:9], v[38:39] op_sel:[0,0,1] op_sel_hi:[1,0,0] neg_lo:[0,0,1] neg_hi:[0,0,1]
	v_pk_mul_f32 v[38:39], v[50:51], v[72:73] op_sel_hi:[1,0]
	v_pk_fma_f32 v[16:17], v[16:17], 2.0, v[68:69] op_sel_hi:[1,0,1] neg_lo:[0,0,1] neg_hi:[0,0,1]
	v_pk_fma_f32 v[46:47], v[78:79], 2.0, v[22:23] op_sel_hi:[1,0,1] neg_lo:[0,0,1] neg_hi:[0,0,1]
	v_mov_b32_e32 v1, v3
	v_mov_b32_e32 v5, v27
	;; [unrolled: 1-line block ×3, first 2 shown]
	v_pk_fma_f32 v[6:7], v[50:51], v[10:11], v[38:39] op_sel:[0,0,1] op_sel_hi:[1,1,0]
	v_pk_fma_f32 v[8:9], v[50:51], v[10:11], v[38:39] op_sel:[0,0,1] op_sel_hi:[1,0,0] neg_lo:[0,0,1] neg_hi:[0,0,1]
	v_pk_add_f32 v[10:11], v[16:17], v[46:47] neg_lo:[0,1] neg_hi:[0,1]
	v_pk_add_f32 v[0:1], v[18:19], v[0:1] neg_lo:[0,1] neg_hi:[0,1]
	;; [unrolled: 1-line block ×3, first 2 shown]
	v_pk_fma_f32 v[4:5], v[16:17], 2.0, v[10:11] op_sel_hi:[1,0,1] neg_lo:[0,0,1] neg_hi:[0,0,1]
	v_pk_fma_f32 v[16:17], v[18:19], 2.0, v[0:1] op_sel_hi:[1,0,1] neg_lo:[0,0,1] neg_hi:[0,0,1]
	s_waitcnt vmcnt(2)
	v_pk_mul_f32 v[18:19], v[54:55], v[62:63] op_sel:[0,1]
	s_waitcnt vmcnt(1)
	v_pk_mul_f32 v[46:47], v[20:21], v[12:13] op_sel:[0,1]
	v_pk_fma_f32 v[26:27], v[54:55], v[62:63], v[18:19] op_sel:[0,0,1] op_sel_hi:[1,1,0]
	v_pk_fma_f32 v[18:19], v[54:55], v[62:63], v[18:19] op_sel:[0,0,1] op_sel_hi:[1,0,0] neg_lo:[0,0,1] neg_hi:[0,0,1]
	v_mov_b32_e32 v7, v9
	v_mov_b32_e32 v27, v19
	ds_read_b64 v[18:19], v170 offset:14280
	v_pk_fma_f32 v[8:9], v[74:75], 2.0, v[2:3] op_sel_hi:[1,0,1] neg_lo:[0,0,1] neg_hi:[0,0,1]
	v_pk_fma_f32 v[48:49], v[20:21], v[12:13], v[46:47] op_sel:[0,0,1] op_sel_hi:[1,1,0]
	v_pk_fma_f32 v[12:13], v[20:21], v[12:13], v[46:47] op_sel:[0,0,1] op_sel_hi:[1,0,0] neg_lo:[0,0,1] neg_hi:[0,0,1]
	v_pk_add_f32 v[8:9], v[16:17], v[8:9] neg_lo:[0,1] neg_hi:[0,1]
	v_mov_b32_e32 v12, v15
	v_pk_fma_f32 v[16:17], v[16:17], 2.0, v[8:9] op_sel_hi:[1,0,1] neg_lo:[0,0,1] neg_hi:[0,0,1]
	v_pk_add_f32 v[6:7], v[66:67], v[6:7] neg_lo:[0,1] neg_hi:[0,1]
	v_pk_add_f32 v[26:27], v[44:45], v[26:27] neg_lo:[0,1] neg_hi:[0,1]
	v_mov_b32_e32 v49, v13
	v_pk_mul_f32 v[12:13], v[24:25], v[12:13] op_sel_hi:[1,0]
	v_pk_fma_f32 v[38:39], v[66:67], 2.0, v[6:7] op_sel_hi:[1,0,1] neg_lo:[0,0,1] neg_hi:[0,0,1]
	v_pk_fma_f32 v[44:45], v[44:45], 2.0, v[26:27] op_sel_hi:[1,0,1] neg_lo:[0,0,1] neg_hi:[0,0,1]
	v_pk_fma_f32 v[20:21], v[24:25], v[14:15], v[12:13] op_sel:[0,0,1] op_sel_hi:[1,1,0]
	v_pk_fma_f32 v[12:13], v[24:25], v[14:15], v[12:13] op_sel:[0,0,1] op_sel_hi:[1,0,0] neg_lo:[0,0,1] neg_hi:[0,0,1]
	s_waitcnt lgkmcnt(0)
	s_barrier
	v_pk_add_f32 v[24:25], v[68:69], v[22:23] op_sel:[0,1] op_sel_hi:[1,0]
	v_pk_add_f32 v[22:23], v[68:69], v[22:23] op_sel:[0,1] op_sel_hi:[1,0] neg_lo:[0,1] neg_hi:[0,1]
	ds_write2_b64 v170, v[4:5], v[16:17] offset1:119
	v_pk_add_f32 v[4:5], v[0:1], v[2:3] op_sel:[0,1] op_sel_hi:[1,0]
	v_pk_add_f32 v[2:3], v[0:1], v[2:3] op_sel:[0,1] op_sel_hi:[1,0] neg_lo:[0,1] neg_hi:[0,1]
	v_pk_add_f32 v[44:45], v[38:39], v[44:45] neg_lo:[0,1] neg_hi:[0,1]
	v_mov_b32_e32 v21, v13
	s_waitcnt vmcnt(0)
	v_pk_mul_f32 v[12:13], v[18:19], v[64:65] op_sel:[0,1]
	v_mov_b32_e32 v25, v23
	v_add_u32_e32 v2, 0x1c00, v170
	v_pk_fma_f32 v[38:39], v[38:39], 2.0, v[44:45] op_sel_hi:[1,0,1] neg_lo:[0,0,1] neg_hi:[0,0,1]
	v_pk_fma_f32 v[14:15], v[18:19], v[64:65], v[12:13] op_sel:[0,0,1] op_sel_hi:[1,1,0]
	v_pk_fma_f32 v[12:13], v[18:19], v[64:65], v[12:13] op_sel:[0,0,1] op_sel_hi:[1,0,0] neg_lo:[0,0,1] neg_hi:[0,0,1]
	v_pk_fma_f32 v[22:23], v[68:69], 2.0, v[24:25] op_sel_hi:[1,0,1] neg_lo:[0,0,1] neg_hi:[0,0,1]
	ds_write2_b64 v2, v[10:11], v[8:9] offset0:56 offset1:175
	v_add_u32_e32 v2, 0x700, v170
	v_mov_b32_e32 v15, v13
	v_mov_b32_e32 v5, v3
	ds_write2_b64 v2, v[38:39], v[22:23] offset0:14 offset1:252
	v_pk_add_f32 v[2:3], v[6:7], v[26:27] op_sel:[0,1] op_sel_hi:[1,0]
	v_pk_add_f32 v[8:9], v[6:7], v[26:27] op_sel:[0,1] op_sel_hi:[1,0] neg_lo:[0,1] neg_hi:[0,1]
	v_pk_add_f32 v[12:13], v[70:71], v[20:21] neg_lo:[0,1] neg_hi:[0,1]
	v_pk_add_f32 v[14:15], v[48:49], v[14:15] neg_lo:[0,1] neg_hi:[0,1]
	v_mov_b32_e32 v3, v9
	v_pk_fma_f32 v[18:19], v[70:71], 2.0, v[12:13] op_sel_hi:[1,0,1] neg_lo:[0,0,1] neg_hi:[0,0,1]
	v_pk_fma_f32 v[20:21], v[48:49], 2.0, v[14:15] op_sel_hi:[1,0,1] neg_lo:[0,0,1] neg_hi:[0,0,1]
	v_pk_fma_f32 v[0:1], v[0:1], 2.0, v[4:5] op_sel_hi:[1,0,1] neg_lo:[0,0,1] neg_hi:[0,0,1]
	v_pk_fma_f32 v[6:7], v[6:7], 2.0, v[2:3] op_sel_hi:[1,0,1] neg_lo:[0,0,1] neg_hi:[0,0,1]
	v_pk_add_f32 v[20:21], v[18:19], v[20:21] neg_lo:[0,1] neg_hi:[0,1]
	ds_write2_b64 v29, v[0:1], v[6:7] offset0:83 offset1:202
	v_add_u32_e32 v0, 0x2500, v170
	v_pk_fma_f32 v[18:19], v[18:19], 2.0, v[20:21] op_sel_hi:[1,0,1] neg_lo:[0,0,1] neg_hi:[0,0,1]
	ds_write2_b64 v0, v[44:45], v[24:25] offset0:6 offset1:244
	ds_write2_b64 v35, v[4:5], v[2:3] offset0:11 offset1:130
	ds_write_b64 v61, v[18:19]
	v_pk_add_f32 v[0:1], v[12:13], v[14:15] op_sel:[0,1] op_sel_hi:[1,0]
	v_pk_add_f32 v[2:3], v[12:13], v[14:15] op_sel:[0,1] op_sel_hi:[1,0] neg_lo:[0,1] neg_hi:[0,1]
                                        ; implicit-def: $vgpr6_vgpr7
	s_nop 0
	v_mov_b32_e32 v1, v3
	v_pk_fma_f32 v[2:3], v[12:13], 2.0, v[0:1] op_sel_hi:[1,0,1] neg_lo:[0,0,1] neg_hi:[0,0,1]
	ds_write_b64 v61, v[2:3] offset:3808
	ds_write_b64 v61, v[20:21] offset:7616
	;; [unrolled: 1-line block ×3, first 2 shown]
	s_waitcnt lgkmcnt(0)
	s_barrier
	ds_read_b64 v[4:5], v170
	v_lshlrev_b32_e32 v0, 3, v34
	v_sub_u32_e32 v8, 0, v0
                                        ; implicit-def: $vgpr3
                                        ; implicit-def: $vgpr0_vgpr1
	s_and_saveexec_b64 s[8:9], vcc
	s_xor_b64 s[8:9], exec, s[8:9]
	s_cbranch_execz .LBB0_21
; %bb.20:
	v_mov_b32_e32 v35, 0
	v_lshl_add_u64 v[0:1], v[34:35], 3, s[2:3]
	global_load_dwordx2 v[0:1], v[0:1], off
	ds_read_b64 v[2:3], v8 offset:15232
	v_mov_b32_e32 v7, 0.5
	v_mov_b32_e32 v10, v7
	s_waitcnt lgkmcnt(0)
	v_pk_add_f32 v[12:13], v[2:3], v[4:5]
	v_pk_add_f32 v[2:3], v[4:5], v[2:3] neg_lo:[0,1] neg_hi:[0,1]
	v_mov_b32_e32 v4, v13
	v_mov_b32_e32 v5, v2
	v_pk_mul_f32 v[4:5], v[4:5], 0.5 op_sel_hi:[1,0]
	s_waitcnt vmcnt(0)
	v_mov_b32_e32 v6, v1
	v_mov_b32_e32 v2, v5
	;; [unrolled: 1-line block ×4, first 2 shown]
	v_pk_mul_f32 v[2:3], v[6:7], v[2:3]
	v_pk_mul_f32 v[14:15], v[0:1], v[4:5] op_sel_hi:[0,1]
	v_pk_fma_f32 v[6:7], v[12:13], v[10:11], v[2:3]
	v_pk_fma_f32 v[10:11], v[12:13], v[10:11], v[2:3] neg_lo:[0,0,1] neg_hi:[0,0,1]
	v_pk_fma_f32 v[2:3], v[0:1], v[4:5], v[6:7] op_sel_hi:[0,1,1] neg_lo:[1,0,0] neg_hi:[1,0,0]
	v_pk_fma_f32 v[0:1], v[0:1], v[4:5], v[10:11] op_sel_hi:[0,1,1] neg_lo:[1,0,0] neg_hi:[1,0,0]
	v_add_f32_e32 v2, v6, v14
	v_mov_b64_e32 v[6:7], v[34:35]
                                        ; implicit-def: $vgpr4_vgpr5
.LBB0_21:
	s_andn2_saveexec_b64 s[8:9], s[8:9]
	s_cbranch_execz .LBB0_23
; %bb.22:
	s_waitcnt lgkmcnt(0)
	v_mov_b32_e32 v0, v5
	v_pk_add_f32 v[0:1], v[4:5], v[0:1] neg_lo:[0,1] neg_hi:[0,1]
	v_add_f32_e32 v2, v5, v4
	v_mov_b32_e32 v1, 0
	ds_read_b32 v3, v1 offset:7620
	v_mov_b64_e32 v[6:7], 0
	s_waitcnt lgkmcnt(0)
	v_xor_b32_e32 v3, 0x80000000, v3
	ds_write_b32 v1, v3 offset:7620
	v_mov_b32_e32 v3, v1
.LBB0_23:
	s_or_b64 exec, exec, s[8:9]
	s_waitcnt lgkmcnt(0)
	v_lshl_add_u64 v[4:5], v[6:7], 3, s[2:3]
	global_load_dwordx2 v[6:7], v[4:5], off offset:952
	global_load_dwordx2 v[10:11], v[4:5], off offset:1904
	v_mov_b32_e32 v29, 0
	v_lshl_add_u64 v[12:13], v[28:29], 3, s[2:3]
	global_load_dwordx2 v[12:13], v[12:13], off
	v_mov_b32_e32 v43, v29
	ds_write_b64 v170, v[2:3]
	ds_write_b64 v8, v[0:1] offset:15232
	v_lshl_add_u64 v[2:3], v[42:43], 3, s[2:3]
	global_load_dwordx2 v[2:3], v[2:3], off
	v_mov_b32_e32 v41, v29
	v_lshl_add_u64 v[24:25], v[40:41], 3, s[2:3]
	ds_read_b64 v[14:15], v170 offset:952
	ds_read_b64 v[16:17], v8 offset:14280
	global_load_dwordx2 v[24:25], v[24:25], off
	v_mov_b32_e32 v1, 0.5
	v_mov_b32_e32 v18, v1
	v_mov_b32_e32 v31, v29
	s_waitcnt lgkmcnt(0)
	v_pk_add_f32 v[26:27], v[14:15], v[16:17]
	v_pk_add_f32 v[14:15], v[14:15], v[16:17] neg_lo:[0,1] neg_hi:[0,1]
	v_mov_b32_e32 v16, v27
	v_mov_b32_e32 v17, v14
	v_pk_mul_f32 v[16:17], v[16:17], 0.5 op_sel_hi:[1,0]
	v_mov_b32_e32 v20, v1
	v_mov_b32_e32 v27, v16
	;; [unrolled: 1-line block ×3, first 2 shown]
	s_movk_i32 s8, 0x1000
	v_add_co_u32_e32 v4, vcc, s8, v4
	v_mov_b32_e32 v22, v1
	s_nop 0
	v_addc_co_u32_e32 v5, vcc, 0, v5, vcc
	s_waitcnt vmcnt(4)
	v_mov_b32_e32 v19, v7
	v_mov_b32_e32 v0, v7
	v_pk_mul_f32 v[18:19], v[26:27], v[18:19]
	s_waitcnt vmcnt(3)
	v_mov_b32_e32 v21, v11
	v_pk_fma_f32 v[26:27], v[0:1], v[14:15], v[18:19] neg_lo:[1,0,0] neg_hi:[1,0,0]
	v_pk_fma_f32 v[14:15], v[0:1], v[14:15], v[18:19]
	v_pk_fma_f32 v[18:19], v[6:7], v[16:17], v[26:27] op_sel_hi:[0,1,1] neg_lo:[1,0,0] neg_hi:[1,0,0]
	v_pk_fma_f32 v[26:27], v[6:7], v[16:17], v[14:15] op_sel_hi:[0,1,1]
	v_pk_fma_f32 v[6:7], v[6:7], v[16:17], v[14:15] op_sel_hi:[0,1,1] neg_lo:[1,0,0] neg_hi:[1,0,0]
	v_mov_b32_e32 v27, v7
	ds_write_b64 v170, v[26:27] offset:952
	ds_write_b64 v8, v[18:19] offset:14280
	v_lshl_add_u64 v[16:17], v[30:31], 3, s[2:3]
	ds_read_b64 v[6:7], v170 offset:1904
	ds_read_b64 v[14:15], v8 offset:13328
	global_load_dwordx2 v[16:17], v[16:17], off
	v_mov_b32_e32 v0, v11
	s_waitcnt vmcnt(3)
	v_mov_b32_e32 v23, v13
	s_waitcnt lgkmcnt(0)
	v_pk_add_f32 v[18:19], v[6:7], v[14:15]
	v_pk_add_f32 v[6:7], v[6:7], v[14:15] neg_lo:[0,1] neg_hi:[0,1]
	v_mov_b32_e32 v14, v19
	v_mov_b32_e32 v15, v6
	v_pk_mul_f32 v[14:15], v[14:15], 0.5 op_sel_hi:[1,0]
	s_nop 0
	v_mov_b32_e32 v19, v14
	v_mov_b32_e32 v6, v15
	v_pk_mul_f32 v[18:19], v[18:19], v[20:21]
	s_nop 0
	v_pk_fma_f32 v[20:21], v[0:1], v[6:7], v[18:19] neg_lo:[1,0,0] neg_hi:[1,0,0]
	v_pk_fma_f32 v[6:7], v[0:1], v[6:7], v[18:19]
	v_pk_fma_f32 v[18:19], v[10:11], v[14:15], v[20:21] op_sel_hi:[0,1,1] neg_lo:[1,0,0] neg_hi:[1,0,0]
	v_pk_fma_f32 v[20:21], v[10:11], v[14:15], v[6:7] op_sel_hi:[0,1,1]
	v_pk_fma_f32 v[6:7], v[10:11], v[14:15], v[6:7] op_sel_hi:[0,1,1] neg_lo:[1,0,0] neg_hi:[1,0,0]
	v_mov_b32_e32 v21, v7
	ds_write_b64 v170, v[20:21] offset:1904
	ds_write_b64 v8, v[18:19] offset:13328
	ds_read_b64 v[6:7], v61
	ds_read_b64 v[10:11], v8 offset:12376
	global_load_dwordx2 v[4:5], v[4:5], off offset:2568
	v_mov_b32_e32 v0, v13
	s_waitcnt lgkmcnt(0)
	v_pk_add_f32 v[14:15], v[6:7], v[10:11]
	v_pk_add_f32 v[6:7], v[6:7], v[10:11] neg_lo:[0,1] neg_hi:[0,1]
	v_mov_b32_e32 v10, v15
	v_mov_b32_e32 v11, v6
	v_pk_mul_f32 v[10:11], v[10:11], 0.5 op_sel_hi:[1,0]
	s_nop 0
	v_mov_b32_e32 v15, v10
	v_mov_b32_e32 v6, v11
	v_pk_mul_f32 v[14:15], v[14:15], v[22:23]
	s_nop 0
	v_pk_fma_f32 v[18:19], v[0:1], v[6:7], v[14:15] neg_lo:[1,0,0] neg_hi:[1,0,0]
	v_pk_fma_f32 v[6:7], v[0:1], v[6:7], v[14:15]
	v_pk_fma_f32 v[14:15], v[12:13], v[10:11], v[18:19] op_sel_hi:[0,1,1] neg_lo:[1,0,0] neg_hi:[1,0,0]
	v_pk_fma_f32 v[18:19], v[12:13], v[10:11], v[6:7] op_sel_hi:[0,1,1]
	v_pk_fma_f32 v[6:7], v[12:13], v[10:11], v[6:7] op_sel_hi:[0,1,1] neg_lo:[1,0,0] neg_hi:[1,0,0]
	v_mov_b32_e32 v19, v7
	ds_write_b64 v61, v[18:19]
	ds_write_b64 v8, v[14:15] offset:12376
	ds_read_b64 v[6:7], v60
	ds_read_b64 v[10:11], v8 offset:11424
	v_mov_b32_e32 v12, v1
	s_waitcnt vmcnt(3)
	v_mov_b32_e32 v13, v3
	v_mov_b32_e32 v0, v3
	s_waitcnt lgkmcnt(0)
	v_pk_add_f32 v[14:15], v[6:7], v[10:11]
	v_pk_add_f32 v[6:7], v[6:7], v[10:11] neg_lo:[0,1] neg_hi:[0,1]
	v_mov_b32_e32 v10, v15
	v_mov_b32_e32 v11, v6
	v_pk_mul_f32 v[10:11], v[10:11], 0.5 op_sel_hi:[1,0]
	s_nop 0
	v_mov_b32_e32 v15, v10
	v_mov_b32_e32 v6, v11
	v_pk_mul_f32 v[12:13], v[14:15], v[12:13]
	s_nop 0
	v_pk_fma_f32 v[14:15], v[0:1], v[6:7], v[12:13] neg_lo:[1,0,0] neg_hi:[1,0,0]
	v_pk_fma_f32 v[6:7], v[0:1], v[6:7], v[12:13]
	v_pk_fma_f32 v[12:13], v[2:3], v[10:11], v[14:15] op_sel_hi:[0,1,1] neg_lo:[1,0,0] neg_hi:[1,0,0]
	v_pk_fma_f32 v[14:15], v[2:3], v[10:11], v[6:7] op_sel_hi:[0,1,1]
	v_pk_fma_f32 v[2:3], v[2:3], v[10:11], v[6:7] op_sel_hi:[0,1,1] neg_lo:[1,0,0] neg_hi:[1,0,0]
	v_mov_b32_e32 v15, v3
	ds_write_b64 v60, v[14:15]
	ds_write_b64 v8, v[12:13] offset:11424
	ds_read_b64 v[2:3], v59
	ds_read_b64 v[6:7], v8 offset:10472
	v_mov_b32_e32 v10, v1
	s_waitcnt vmcnt(2)
	v_mov_b32_e32 v11, v25
	;; [unrolled: 25-line block ×3, first 2 shown]
	v_mov_b32_e32 v0, v17
	s_waitcnt lgkmcnt(0)
	v_pk_add_f32 v[12:13], v[2:3], v[6:7]
	v_pk_add_f32 v[2:3], v[2:3], v[6:7] neg_lo:[0,1] neg_hi:[0,1]
	v_mov_b32_e32 v6, v13
	v_mov_b32_e32 v7, v2
	v_pk_mul_f32 v[6:7], v[6:7], 0.5 op_sel_hi:[1,0]
	s_nop 0
	v_mov_b32_e32 v13, v6
	v_mov_b32_e32 v2, v7
	v_pk_mul_f32 v[10:11], v[12:13], v[10:11]
	s_nop 0
	v_pk_fma_f32 v[12:13], v[0:1], v[2:3], v[10:11] neg_lo:[1,0,0] neg_hi:[1,0,0]
	v_pk_fma_f32 v[2:3], v[0:1], v[2:3], v[10:11]
	v_pk_fma_f32 v[10:11], v[16:17], v[6:7], v[12:13] op_sel_hi:[0,1,1] neg_lo:[1,0,0] neg_hi:[1,0,0]
	v_pk_fma_f32 v[12:13], v[16:17], v[6:7], v[2:3] op_sel_hi:[0,1,1]
	v_pk_fma_f32 v[2:3], v[16:17], v[6:7], v[2:3] op_sel_hi:[0,1,1] neg_lo:[1,0,0] neg_hi:[1,0,0]
	v_mov_b32_e32 v13, v3
	ds_write_b64 v58, v[12:13]
	ds_write_b64 v8, v[10:11] offset:9520
	ds_read_b64 v[2:3], v170 offset:6664
	ds_read_b64 v[6:7], v8 offset:8568
	v_mov_b32_e32 v10, v1
	s_waitcnt vmcnt(0)
	v_mov_b32_e32 v11, v5
	v_mov_b32_e32 v0, v5
	s_waitcnt lgkmcnt(0)
	v_pk_add_f32 v[12:13], v[2:3], v[6:7]
	v_pk_add_f32 v[2:3], v[2:3], v[6:7] neg_lo:[0,1] neg_hi:[0,1]
	v_mov_b32_e32 v6, v13
	v_mov_b32_e32 v7, v2
	v_pk_mul_f32 v[6:7], v[6:7], 0.5 op_sel_hi:[1,0]
	s_nop 0
	v_mov_b32_e32 v13, v6
	v_mov_b32_e32 v2, v7
	v_pk_mul_f32 v[10:11], v[12:13], v[10:11]
	s_nop 0
	v_pk_fma_f32 v[12:13], v[0:1], v[2:3], v[10:11] neg_lo:[1,0,0] neg_hi:[1,0,0]
	v_pk_fma_f32 v[0:1], v[0:1], v[2:3], v[10:11]
	v_pk_fma_f32 v[2:3], v[4:5], v[6:7], v[12:13] op_sel_hi:[0,1,1] neg_lo:[1,0,0] neg_hi:[1,0,0]
	v_pk_fma_f32 v[10:11], v[4:5], v[6:7], v[0:1] op_sel_hi:[0,1,1]
	v_pk_fma_f32 v[0:1], v[4:5], v[6:7], v[0:1] op_sel_hi:[0,1,1] neg_lo:[1,0,0] neg_hi:[1,0,0]
	v_mov_b32_e32 v11, v1
	ds_write_b64 v170, v[10:11] offset:6664
	ds_write_b64 v8, v[2:3] offset:8568
	s_waitcnt lgkmcnt(0)
	s_barrier
	s_and_saveexec_b64 s[2:3], s[0:1]
	s_cbranch_execz .LBB0_26
; %bb.24:
	v_mul_lo_u32 v2, s5, v36
	v_mul_lo_u32 v3, s4, v37
	v_mad_u64_u32 v[0:1], s[0:1], s4, v36, 0
	v_lshl_add_u32 v10, v34, 3, 0
	v_add3_u32 v1, v1, v3, v2
	ds_read2_b64 v[2:5], v10 offset1:119
	v_lshl_add_u64 v[0:1], v[0:1], 3, s[6:7]
	v_mov_b32_e32 v35, v29
	v_lshl_add_u64 v[0:1], v[32:33], 3, v[0:1]
	v_lshl_add_u64 v[6:7], v[34:35], 3, v[0:1]
	s_waitcnt lgkmcnt(0)
	global_store_dwordx2 v[6:7], v[2:3], off
	v_add_u32_e32 v2, 0x400, v10
	ds_read2_b64 v[6:9], v2 offset0:110 offset1:229
	v_add_u32_e32 v28, 0x77, v34
	v_lshl_add_u64 v[2:3], v[28:29], 3, v[0:1]
	v_add_u32_e32 v28, 0xee, v34
	global_store_dwordx2 v[2:3], v[4:5], off
	v_lshl_add_u64 v[2:3], v[28:29], 3, v[0:1]
	s_waitcnt lgkmcnt(0)
	global_store_dwordx2 v[2:3], v[6:7], off
	v_add_u32_e32 v2, 0xc00, v10
	ds_read2_b64 v[2:5], v2 offset0:92 offset1:211
	v_add_u32_e32 v28, 0x165, v34
	v_lshl_add_u64 v[6:7], v[28:29], 3, v[0:1]
	v_add_u32_e32 v28, 0x1dc, v34
	global_store_dwordx2 v[6:7], v[8:9], off
	;; [unrolled: 9-line block ×7, first 2 shown]
	v_lshl_add_u64 v[2:3], v[28:29], 3, v[0:1]
	v_add_u32_e32 v28, 0x6f9, v34
	s_movk_i32 s0, 0x76
	s_waitcnt lgkmcnt(0)
	global_store_dwordx2 v[2:3], v[6:7], off
	v_lshl_add_u64 v[2:3], v[28:29], 3, v[0:1]
	v_cmp_eq_u32_e32 vcc, s0, v34
	global_store_dwordx2 v[2:3], v[8:9], off
	s_and_b64 exec, exec, vcc
	s_cbranch_execz .LBB0_26
; %bb.25:
	v_mov_b32_e32 v2, 0
	ds_read_b64 v[2:3], v2 offset:15232
	v_add_co_u32_e32 v0, vcc, 0x3000, v0
	s_nop 1
	v_addc_co_u32_e32 v1, vcc, 0, v1, vcc
	s_waitcnt lgkmcnt(0)
	global_store_dwordx2 v[0:1], v[2:3], off offset:2944
.LBB0_26:
	s_endpgm
	.section	.rodata,"a",@progbits
	.p2align	6, 0x0
	.amdhsa_kernel fft_rtc_back_len1904_factors_17_2_2_7_4_wgs_119_tpt_119_halfLds_sp_op_CI_CI_unitstride_sbrr_R2C_dirReg
		.amdhsa_group_segment_fixed_size 0
		.amdhsa_private_segment_fixed_size 0
		.amdhsa_kernarg_size 104
		.amdhsa_user_sgpr_count 2
		.amdhsa_user_sgpr_dispatch_ptr 0
		.amdhsa_user_sgpr_queue_ptr 0
		.amdhsa_user_sgpr_kernarg_segment_ptr 1
		.amdhsa_user_sgpr_dispatch_id 0
		.amdhsa_user_sgpr_kernarg_preload_length 0
		.amdhsa_user_sgpr_kernarg_preload_offset 0
		.amdhsa_user_sgpr_private_segment_size 0
		.amdhsa_uses_dynamic_stack 0
		.amdhsa_enable_private_segment 0
		.amdhsa_system_sgpr_workgroup_id_x 1
		.amdhsa_system_sgpr_workgroup_id_y 0
		.amdhsa_system_sgpr_workgroup_id_z 0
		.amdhsa_system_sgpr_workgroup_info 0
		.amdhsa_system_vgpr_workitem_id 0
		.amdhsa_next_free_vgpr 246
		.amdhsa_next_free_sgpr 56
		.amdhsa_accum_offset 248
		.amdhsa_reserve_vcc 1
		.amdhsa_float_round_mode_32 0
		.amdhsa_float_round_mode_16_64 0
		.amdhsa_float_denorm_mode_32 3
		.amdhsa_float_denorm_mode_16_64 3
		.amdhsa_dx10_clamp 1
		.amdhsa_ieee_mode 1
		.amdhsa_fp16_overflow 0
		.amdhsa_tg_split 0
		.amdhsa_exception_fp_ieee_invalid_op 0
		.amdhsa_exception_fp_denorm_src 0
		.amdhsa_exception_fp_ieee_div_zero 0
		.amdhsa_exception_fp_ieee_overflow 0
		.amdhsa_exception_fp_ieee_underflow 0
		.amdhsa_exception_fp_ieee_inexact 0
		.amdhsa_exception_int_div_zero 0
	.end_amdhsa_kernel
	.text
.Lfunc_end0:
	.size	fft_rtc_back_len1904_factors_17_2_2_7_4_wgs_119_tpt_119_halfLds_sp_op_CI_CI_unitstride_sbrr_R2C_dirReg, .Lfunc_end0-fft_rtc_back_len1904_factors_17_2_2_7_4_wgs_119_tpt_119_halfLds_sp_op_CI_CI_unitstride_sbrr_R2C_dirReg
                                        ; -- End function
	.section	.AMDGPU.csdata,"",@progbits
; Kernel info:
; codeLenInByte = 14112
; NumSgprs: 62
; NumVgprs: 246
; NumAgprs: 0
; TotalNumVgprs: 246
; ScratchSize: 0
; MemoryBound: 0
; FloatMode: 240
; IeeeMode: 1
; LDSByteSize: 0 bytes/workgroup (compile time only)
; SGPRBlocks: 7
; VGPRBlocks: 30
; NumSGPRsForWavesPerEU: 62
; NumVGPRsForWavesPerEU: 246
; AccumOffset: 248
; Occupancy: 2
; WaveLimiterHint : 1
; COMPUTE_PGM_RSRC2:SCRATCH_EN: 0
; COMPUTE_PGM_RSRC2:USER_SGPR: 2
; COMPUTE_PGM_RSRC2:TRAP_HANDLER: 0
; COMPUTE_PGM_RSRC2:TGID_X_EN: 1
; COMPUTE_PGM_RSRC2:TGID_Y_EN: 0
; COMPUTE_PGM_RSRC2:TGID_Z_EN: 0
; COMPUTE_PGM_RSRC2:TIDIG_COMP_CNT: 0
; COMPUTE_PGM_RSRC3_GFX90A:ACCUM_OFFSET: 61
; COMPUTE_PGM_RSRC3_GFX90A:TG_SPLIT: 0
	.text
	.p2alignl 6, 3212836864
	.fill 256, 4, 3212836864
	.type	__hip_cuid_c25761739a28853b,@object ; @__hip_cuid_c25761739a28853b
	.section	.bss,"aw",@nobits
	.globl	__hip_cuid_c25761739a28853b
__hip_cuid_c25761739a28853b:
	.byte	0                               ; 0x0
	.size	__hip_cuid_c25761739a28853b, 1

	.ident	"AMD clang version 19.0.0git (https://github.com/RadeonOpenCompute/llvm-project roc-6.4.0 25133 c7fe45cf4b819c5991fe208aaa96edf142730f1d)"
	.section	".note.GNU-stack","",@progbits
	.addrsig
	.addrsig_sym __hip_cuid_c25761739a28853b
	.amdgpu_metadata
---
amdhsa.kernels:
  - .agpr_count:     0
    .args:
      - .actual_access:  read_only
        .address_space:  global
        .offset:         0
        .size:           8
        .value_kind:     global_buffer
      - .offset:         8
        .size:           8
        .value_kind:     by_value
      - .actual_access:  read_only
        .address_space:  global
        .offset:         16
        .size:           8
        .value_kind:     global_buffer
      - .actual_access:  read_only
        .address_space:  global
        .offset:         24
        .size:           8
        .value_kind:     global_buffer
      - .actual_access:  read_only
        .address_space:  global
        .offset:         32
        .size:           8
        .value_kind:     global_buffer
      - .offset:         40
        .size:           8
        .value_kind:     by_value
      - .actual_access:  read_only
        .address_space:  global
        .offset:         48
        .size:           8
        .value_kind:     global_buffer
      - .actual_access:  read_only
        .address_space:  global
        .offset:         56
        .size:           8
        .value_kind:     global_buffer
      - .offset:         64
        .size:           4
        .value_kind:     by_value
      - .actual_access:  read_only
        .address_space:  global
        .offset:         72
        .size:           8
        .value_kind:     global_buffer
      - .actual_access:  read_only
        .address_space:  global
        .offset:         80
        .size:           8
        .value_kind:     global_buffer
      - .actual_access:  read_only
        .address_space:  global
        .offset:         88
        .size:           8
        .value_kind:     global_buffer
      - .actual_access:  write_only
        .address_space:  global
        .offset:         96
        .size:           8
        .value_kind:     global_buffer
    .group_segment_fixed_size: 0
    .kernarg_segment_align: 8
    .kernarg_segment_size: 104
    .language:       OpenCL C
    .language_version:
      - 2
      - 0
    .max_flat_workgroup_size: 119
    .name:           fft_rtc_back_len1904_factors_17_2_2_7_4_wgs_119_tpt_119_halfLds_sp_op_CI_CI_unitstride_sbrr_R2C_dirReg
    .private_segment_fixed_size: 0
    .sgpr_count:     62
    .sgpr_spill_count: 0
    .symbol:         fft_rtc_back_len1904_factors_17_2_2_7_4_wgs_119_tpt_119_halfLds_sp_op_CI_CI_unitstride_sbrr_R2C_dirReg.kd
    .uniform_work_group_size: 1
    .uses_dynamic_stack: false
    .vgpr_count:     246
    .vgpr_spill_count: 0
    .wavefront_size: 64
amdhsa.target:   amdgcn-amd-amdhsa--gfx950
amdhsa.version:
  - 1
  - 2
...

	.end_amdgpu_metadata
